;; amdgpu-corpus repo=ROCm/rocFFT kind=compiled arch=gfx906 opt=O3
	.text
	.amdgcn_target "amdgcn-amd-amdhsa--gfx906"
	.amdhsa_code_object_version 6
	.protected	fft_rtc_fwd_len1920_factors_10_6_16_2_wgs_240_tpt_120_halfLds_dp_op_CI_CI_unitstride_sbrr_R2C_dirReg ; -- Begin function fft_rtc_fwd_len1920_factors_10_6_16_2_wgs_240_tpt_120_halfLds_dp_op_CI_CI_unitstride_sbrr_R2C_dirReg
	.globl	fft_rtc_fwd_len1920_factors_10_6_16_2_wgs_240_tpt_120_halfLds_dp_op_CI_CI_unitstride_sbrr_R2C_dirReg
	.p2align	8
	.type	fft_rtc_fwd_len1920_factors_10_6_16_2_wgs_240_tpt_120_halfLds_dp_op_CI_CI_unitstride_sbrr_R2C_dirReg,@function
fft_rtc_fwd_len1920_factors_10_6_16_2_wgs_240_tpt_120_halfLds_dp_op_CI_CI_unitstride_sbrr_R2C_dirReg: ; @fft_rtc_fwd_len1920_factors_10_6_16_2_wgs_240_tpt_120_halfLds_dp_op_CI_CI_unitstride_sbrr_R2C_dirReg
; %bb.0:
	s_load_dwordx4 s[8:11], s[4:5], 0x58
	s_load_dwordx4 s[12:15], s[4:5], 0x0
	;; [unrolled: 1-line block ×3, first 2 shown]
	v_mul_u32_u24_e32 v1, 0x223, v0
	v_lshrrev_b32_e32 v7, 16, v1
	v_mov_b32_e32 v3, 0
	s_waitcnt lgkmcnt(0)
	v_cmp_lt_u64_e64 s[0:1], s[14:15], 2
	v_mov_b32_e32 v1, 0
	v_lshl_add_u32 v5, s6, 1, v7
	v_mov_b32_e32 v6, v3
	s_and_b64 vcc, exec, s[0:1]
	v_mov_b32_e32 v2, 0
	s_cbranch_vccnz .LBB0_8
; %bb.1:
	s_load_dwordx2 s[0:1], s[4:5], 0x10
	s_add_u32 s2, s18, 8
	s_addc_u32 s3, s19, 0
	s_add_u32 s6, s16, 8
	v_mov_b32_e32 v1, 0
	s_addc_u32 s7, s17, 0
	v_mov_b32_e32 v2, 0
	s_waitcnt lgkmcnt(0)
	s_add_u32 s20, s0, 8
	v_mov_b32_e32 v81, v2
	s_addc_u32 s21, s1, 0
	s_mov_b64 s[22:23], 1
	v_mov_b32_e32 v80, v1
.LBB0_2:                                ; =>This Inner Loop Header: Depth=1
	s_load_dwordx2 s[24:25], s[20:21], 0x0
                                        ; implicit-def: $vgpr84_vgpr85
	s_waitcnt lgkmcnt(0)
	v_or_b32_e32 v4, s25, v6
	v_cmp_ne_u64_e32 vcc, 0, v[3:4]
	s_and_saveexec_b64 s[0:1], vcc
	s_xor_b64 s[26:27], exec, s[0:1]
	s_cbranch_execz .LBB0_4
; %bb.3:                                ;   in Loop: Header=BB0_2 Depth=1
	v_cvt_f32_u32_e32 v4, s24
	v_cvt_f32_u32_e32 v8, s25
	s_sub_u32 s0, 0, s24
	s_subb_u32 s1, 0, s25
	v_mac_f32_e32 v4, 0x4f800000, v8
	v_rcp_f32_e32 v4, v4
	v_mul_f32_e32 v4, 0x5f7ffffc, v4
	v_mul_f32_e32 v8, 0x2f800000, v4
	v_trunc_f32_e32 v8, v8
	v_mac_f32_e32 v4, 0xcf800000, v8
	v_cvt_u32_f32_e32 v8, v8
	v_cvt_u32_f32_e32 v4, v4
	v_mul_lo_u32 v9, s0, v8
	v_mul_hi_u32 v10, s0, v4
	v_mul_lo_u32 v12, s1, v4
	v_mul_lo_u32 v11, s0, v4
	v_add_u32_e32 v9, v10, v9
	v_add_u32_e32 v9, v9, v12
	v_mul_hi_u32 v10, v4, v11
	v_mul_lo_u32 v12, v4, v9
	v_mul_hi_u32 v14, v4, v9
	v_mul_hi_u32 v13, v8, v11
	v_mul_lo_u32 v11, v8, v11
	v_mul_hi_u32 v15, v8, v9
	v_add_co_u32_e32 v10, vcc, v10, v12
	v_addc_co_u32_e32 v12, vcc, 0, v14, vcc
	v_mul_lo_u32 v9, v8, v9
	v_add_co_u32_e32 v10, vcc, v10, v11
	v_addc_co_u32_e32 v10, vcc, v12, v13, vcc
	v_addc_co_u32_e32 v11, vcc, 0, v15, vcc
	v_add_co_u32_e32 v9, vcc, v10, v9
	v_addc_co_u32_e32 v10, vcc, 0, v11, vcc
	v_add_co_u32_e32 v4, vcc, v4, v9
	v_addc_co_u32_e32 v8, vcc, v8, v10, vcc
	v_mul_lo_u32 v9, s0, v8
	v_mul_hi_u32 v10, s0, v4
	v_mul_lo_u32 v11, s1, v4
	v_mul_lo_u32 v12, s0, v4
	v_add_u32_e32 v9, v10, v9
	v_add_u32_e32 v9, v9, v11
	v_mul_lo_u32 v13, v4, v9
	v_mul_hi_u32 v14, v4, v12
	v_mul_hi_u32 v15, v4, v9
	;; [unrolled: 1-line block ×3, first 2 shown]
	v_mul_lo_u32 v12, v8, v12
	v_mul_hi_u32 v10, v8, v9
	v_add_co_u32_e32 v13, vcc, v14, v13
	v_addc_co_u32_e32 v14, vcc, 0, v15, vcc
	v_mul_lo_u32 v9, v8, v9
	v_add_co_u32_e32 v12, vcc, v13, v12
	v_addc_co_u32_e32 v11, vcc, v14, v11, vcc
	v_addc_co_u32_e32 v10, vcc, 0, v10, vcc
	v_add_co_u32_e32 v9, vcc, v11, v9
	v_addc_co_u32_e32 v10, vcc, 0, v10, vcc
	v_add_co_u32_e32 v4, vcc, v4, v9
	v_addc_co_u32_e32 v10, vcc, v8, v10, vcc
	v_mad_u64_u32 v[8:9], s[0:1], v5, v10, 0
	v_mul_hi_u32 v11, v5, v4
	v_add_co_u32_e32 v12, vcc, v11, v8
	v_addc_co_u32_e32 v13, vcc, 0, v9, vcc
	v_mad_u64_u32 v[8:9], s[0:1], v6, v4, 0
	v_mad_u64_u32 v[10:11], s[0:1], v6, v10, 0
	v_add_co_u32_e32 v4, vcc, v12, v8
	v_addc_co_u32_e32 v4, vcc, v13, v9, vcc
	v_addc_co_u32_e32 v8, vcc, 0, v11, vcc
	v_add_co_u32_e32 v4, vcc, v4, v10
	v_addc_co_u32_e32 v10, vcc, 0, v8, vcc
	v_mul_lo_u32 v11, s25, v4
	v_mul_lo_u32 v12, s24, v10
	v_mad_u64_u32 v[8:9], s[0:1], s24, v4, 0
	v_add3_u32 v9, v9, v12, v11
	v_sub_u32_e32 v11, v6, v9
	v_mov_b32_e32 v12, s25
	v_sub_co_u32_e32 v8, vcc, v5, v8
	v_subb_co_u32_e64 v11, s[0:1], v11, v12, vcc
	v_subrev_co_u32_e64 v12, s[0:1], s24, v8
	v_subbrev_co_u32_e64 v11, s[0:1], 0, v11, s[0:1]
	v_cmp_le_u32_e64 s[0:1], s25, v11
	v_cndmask_b32_e64 v13, 0, -1, s[0:1]
	v_cmp_le_u32_e64 s[0:1], s24, v12
	v_cndmask_b32_e64 v12, 0, -1, s[0:1]
	v_cmp_eq_u32_e64 s[0:1], s25, v11
	v_cndmask_b32_e64 v11, v13, v12, s[0:1]
	v_add_co_u32_e64 v12, s[0:1], 2, v4
	v_addc_co_u32_e64 v13, s[0:1], 0, v10, s[0:1]
	v_add_co_u32_e64 v14, s[0:1], 1, v4
	v_addc_co_u32_e64 v15, s[0:1], 0, v10, s[0:1]
	v_subb_co_u32_e32 v9, vcc, v6, v9, vcc
	v_cmp_ne_u32_e64 s[0:1], 0, v11
	v_cmp_le_u32_e32 vcc, s25, v9
	v_cndmask_b32_e64 v11, v15, v13, s[0:1]
	v_cndmask_b32_e64 v13, 0, -1, vcc
	v_cmp_le_u32_e32 vcc, s24, v8
	v_cndmask_b32_e64 v8, 0, -1, vcc
	v_cmp_eq_u32_e32 vcc, s25, v9
	v_cndmask_b32_e32 v8, v13, v8, vcc
	v_cmp_ne_u32_e32 vcc, 0, v8
	v_cndmask_b32_e64 v8, v14, v12, s[0:1]
	v_cndmask_b32_e32 v85, v10, v11, vcc
	v_cndmask_b32_e32 v84, v4, v8, vcc
.LBB0_4:                                ;   in Loop: Header=BB0_2 Depth=1
	s_andn2_saveexec_b64 s[0:1], s[26:27]
	s_cbranch_execz .LBB0_6
; %bb.5:                                ;   in Loop: Header=BB0_2 Depth=1
	v_cvt_f32_u32_e32 v4, s24
	s_sub_i32 s26, 0, s24
	v_mov_b32_e32 v85, v3
	v_rcp_iflag_f32_e32 v4, v4
	v_mul_f32_e32 v4, 0x4f7ffffe, v4
	v_cvt_u32_f32_e32 v4, v4
	v_mul_lo_u32 v8, s26, v4
	v_mul_hi_u32 v8, v4, v8
	v_add_u32_e32 v4, v4, v8
	v_mul_hi_u32 v4, v5, v4
	v_mul_lo_u32 v8, v4, s24
	v_add_u32_e32 v9, 1, v4
	v_sub_u32_e32 v8, v5, v8
	v_subrev_u32_e32 v10, s24, v8
	v_cmp_le_u32_e32 vcc, s24, v8
	v_cndmask_b32_e32 v8, v8, v10, vcc
	v_cndmask_b32_e32 v4, v4, v9, vcc
	v_add_u32_e32 v9, 1, v4
	v_cmp_le_u32_e32 vcc, s24, v8
	v_cndmask_b32_e32 v84, v4, v9, vcc
.LBB0_6:                                ;   in Loop: Header=BB0_2 Depth=1
	s_or_b64 exec, exec, s[0:1]
	v_mul_lo_u32 v4, v85, s24
	v_mul_lo_u32 v10, v84, s25
	v_mad_u64_u32 v[8:9], s[0:1], v84, s24, 0
	s_load_dwordx2 s[0:1], s[6:7], 0x0
	s_load_dwordx2 s[24:25], s[2:3], 0x0
	v_add3_u32 v4, v9, v10, v4
	v_sub_co_u32_e32 v5, vcc, v5, v8
	v_subb_co_u32_e32 v4, vcc, v6, v4, vcc
	s_waitcnt lgkmcnt(0)
	v_mul_lo_u32 v6, s0, v4
	v_mul_lo_u32 v8, s1, v5
	v_mad_u64_u32 v[1:2], s[0:1], s0, v5, v[1:2]
	v_mul_lo_u32 v4, s24, v4
	v_mul_lo_u32 v9, s25, v5
	v_mad_u64_u32 v[80:81], s[0:1], s24, v5, v[80:81]
	s_add_u32 s22, s22, 1
	s_addc_u32 s23, s23, 0
	s_add_u32 s2, s2, 8
	v_add3_u32 v81, v9, v81, v4
	s_addc_u32 s3, s3, 0
	v_mov_b32_e32 v4, s14
	s_add_u32 s6, s6, 8
	v_mov_b32_e32 v5, s15
	s_addc_u32 s7, s7, 0
	v_cmp_ge_u64_e32 vcc, s[22:23], v[4:5]
	s_add_u32 s20, s20, 8
	v_add3_u32 v2, v8, v2, v6
	s_addc_u32 s21, s21, 0
	s_cbranch_vccnz .LBB0_9
; %bb.7:                                ;   in Loop: Header=BB0_2 Depth=1
	v_mov_b32_e32 v5, v84
	v_mov_b32_e32 v6, v85
	s_branch .LBB0_2
.LBB0_8:
	v_mov_b32_e32 v81, v2
	v_mov_b32_e32 v85, v6
	;; [unrolled: 1-line block ×4, first 2 shown]
.LBB0_9:
	s_load_dwordx2 s[2:3], s[4:5], 0x28
	s_lshl_b64 s[6:7], s[14:15], 3
	s_add_u32 s4, s18, s6
	v_and_b32_e32 v3, 1, v7
	s_addc_u32 s5, s19, s7
	s_waitcnt lgkmcnt(0)
	v_cmp_gt_u64_e64 s[0:1], s[2:3], v[84:85]
	v_cmp_le_u64_e64 s[2:3], s[2:3], v[84:85]
	v_cmp_eq_u32_e32 vcc, 1, v3
	v_mov_b32_e32 v3, 0x781
                                        ; implicit-def: $vgpr82
                                        ; implicit-def: $vgpr86
	s_and_saveexec_b64 s[14:15], s[2:3]
	s_xor_b64 s[2:3], exec, s[14:15]
; %bb.10:
	s_mov_b32 s14, 0x2222223
	v_mul_hi_u32 v1, v0, s14
	v_mul_u32_u24_e32 v1, 0x78, v1
	v_sub_u32_e32 v82, v0, v1
	v_add_u32_e32 v86, 0x78, v82
                                        ; implicit-def: $vgpr0
                                        ; implicit-def: $vgpr1_vgpr2
; %bb.11:
	s_or_saveexec_b64 s[2:3], s[2:3]
	v_cndmask_b32_e32 v3, 0, v3, vcc
	v_lshlrev_b32_e32 v83, 4, v3
	s_xor_b64 exec, exec, s[2:3]
	s_cbranch_execz .LBB0_13
; %bb.12:
	s_add_u32 s6, s16, s6
	s_addc_u32 s7, s17, s7
	s_load_dwordx2 s[6:7], s[6:7], 0x0
	s_mov_b32 s14, 0x2222223
	v_mul_hi_u32 v5, v0, s14
	s_waitcnt lgkmcnt(0)
	v_mul_lo_u32 v6, s7, v84
	v_mul_lo_u32 v7, s6, v85
	v_mad_u64_u32 v[3:4], s[6:7], s6, v84, 0
	v_mul_u32_u24_e32 v5, 0x78, v5
	v_sub_u32_e32 v82, v0, v5
	v_add3_u32 v4, v4, v7, v6
	v_lshlrev_b64 v[3:4], 4, v[3:4]
	v_mov_b32_e32 v0, s9
	v_add_co_u32_e32 v3, vcc, s8, v3
	v_addc_co_u32_e32 v4, vcc, v0, v4, vcc
	v_lshlrev_b64 v[0:1], 4, v[1:2]
	v_lshlrev_b32_e32 v68, 4, v82
	v_add_co_u32_e32 v0, vcc, v3, v0
	v_addc_co_u32_e32 v1, vcc, v4, v1, vcc
	v_add_co_u32_e32 v55, vcc, v0, v68
	v_addc_co_u32_e32 v56, vcc, 0, v1, vcc
	s_movk_i32 s6, 0x1000
	v_add_co_u32_e32 v24, vcc, s6, v55
	v_addc_co_u32_e32 v25, vcc, 0, v56, vcc
	s_movk_i32 s6, 0x2000
	;; [unrolled: 3-line block ×5, first 2 shown]
	v_add_co_u32_e32 v57, vcc, s6, v55
	v_addc_co_u32_e32 v58, vcc, 0, v56, vcc
	v_add_co_u32_e32 v64, vcc, 0x6000, v55
	v_addc_co_u32_e32 v65, vcc, 0, v56, vcc
	v_add_co_u32_e32 v66, vcc, 0x7000, v55
	global_load_dwordx4 v[0:3], v[55:56], off
	global_load_dwordx4 v[4:7], v[55:56], off offset:1920
	global_load_dwordx4 v[8:11], v[55:56], off offset:3840
	;; [unrolled: 1-line block ×5, first 2 shown]
	s_nop 0
	global_load_dwordx4 v[24:27], v[32:33], off offset:3328
	global_load_dwordx4 v[28:31], v[40:41], off offset:1152
	s_nop 0
	global_load_dwordx4 v[32:35], v[40:41], off offset:3072
	global_load_dwordx4 v[36:39], v[48:49], off offset:896
	;; [unrolled: 3-line block ×4, first 2 shown]
	v_addc_co_u32_e32 v67, vcc, 0, v56, vcc
	global_load_dwordx4 v[56:59], v[64:65], off offset:2304
	global_load_dwordx4 v[60:63], v[66:67], off offset:128
	v_add_u32_e32 v86, 0x78, v82
	v_add3_u32 v64, 0, v83, v68
	s_waitcnt vmcnt(15)
	ds_write_b128 v64, v[0:3]
	s_waitcnt vmcnt(14)
	ds_write_b128 v64, v[4:7] offset:1920
	s_waitcnt vmcnt(13)
	ds_write_b128 v64, v[8:11] offset:3840
	;; [unrolled: 2-line block ×15, first 2 shown]
.LBB0_13:
	s_or_b64 exec, exec, s[2:3]
	v_lshlrev_b32_e32 v105, 4, v82
	v_add_u32_e32 v0, 0, v105
	v_add_u32_e32 v106, v0, v83
	s_load_dwordx2 s[2:3], s[4:5], 0x0
	s_waitcnt lgkmcnt(0)
	s_barrier
	ds_read_b128 v[40:43], v106 offset:18432
	ds_read_b128 v[48:51], v106 offset:12288
	v_add_u32_e32 v103, 0, v83
	v_add_u32_e32 v104, v103, v105
	ds_read_b128 v[52:55], v106 offset:6144
	ds_read_b128 v[0:3], v106 offset:14208
	;; [unrolled: 1-line block ×3, first 2 shown]
	ds_read_b128 v[56:59], v104
	ds_read_b128 v[66:69], v106 offset:24576
	ds_read_b128 v[36:39], v106 offset:1920
	;; [unrolled: 1-line block ×3, first 2 shown]
	s_waitcnt lgkmcnt(7)
	v_add_f64 v[8:9], v[48:49], v[40:41]
	s_mov_b32 s4, 0x134454ff
	s_waitcnt lgkmcnt(2)
	v_add_f64 v[70:71], v[54:55], -v[68:69]
	s_mov_b32 s5, 0x3fee6f0e
	v_add_f64 v[72:73], v[50:51], -v[42:43]
	v_add_f64 v[24:25], v[52:53], -v[48:49]
	;; [unrolled: 1-line block ×3, first 2 shown]
	s_mov_b32 s6, 0x4755a5e
	v_fma_f64 v[64:65], v[8:9], -0.5, v[56:57]
	s_mov_b32 s7, 0x3fe2cf23
	v_add_f64 v[12:13], v[56:57], v[52:53]
	v_add_f64 v[62:63], v[52:53], v[66:67]
	s_mov_b32 s8, 0x372fe950
	s_mov_b32 s9, 0x3fd3c6ef
	v_add_f64 v[76:77], v[24:25], v[26:27]
	s_mov_b32 s15, 0xbfee6f0e
	v_fma_f64 v[14:15], v[70:71], s[4:5], v[64:65]
	s_mov_b32 s14, s4
	v_add_f64 v[12:13], v[12:13], v[48:49]
	v_fma_f64 v[56:57], v[62:63], -0.5, v[56:57]
	v_fma_f64 v[64:65], v[70:71], s[14:15], v[64:65]
	s_mov_b32 s17, 0xbfe2cf23
	s_mov_b32 s16, s6
	v_add_f64 v[87:88], v[48:49], -v[52:53]
	v_fma_f64 v[74:75], v[72:73], s[6:7], v[14:15]
	v_add_f64 v[101:102], v[40:41], -v[66:67]
	v_add_f64 v[60:61], v[12:13], v[40:41]
	v_fma_f64 v[78:79], v[72:73], s[14:15], v[56:57]
	v_add_f64 v[111:112], v[58:59], v[54:55]
	v_add_f64 v[52:53], v[52:53], -v[66:67]
	v_fma_f64 v[64:65], v[72:73], s[16:17], v[64:65]
	v_fma_f64 v[56:57], v[72:73], s[4:5], v[56:57]
	;; [unrolled: 1-line block ×3, first 2 shown]
	v_add_f64 v[74:75], v[50:51], v[42:43]
	ds_read_b128 v[28:31], v106 offset:26496
	ds_read_b128 v[89:92], v106 offset:3072
	;; [unrolled: 1-line block ×11, first 2 shown]
	v_add_f64 v[60:61], v[60:61], v[66:67]
	v_fma_f64 v[78:79], v[70:71], s[6:7], v[78:79]
	v_add_f64 v[87:88], v[87:88], v[101:102]
	v_fma_f64 v[74:75], v[74:75], -0.5, v[58:59]
	v_add_f64 v[72:73], v[111:112], v[50:51]
	v_add_f64 v[40:41], v[48:49], -v[40:41]
	v_add_f64 v[48:49], v[54:55], -v[50:51]
	;; [unrolled: 1-line block ×3, first 2 shown]
	v_fma_f64 v[66:67], v[76:77], s[8:9], v[64:65]
	v_add_f64 v[76:77], v[54:55], v[68:69]
	v_fma_f64 v[56:57], v[70:71], s[16:17], v[56:57]
	v_fma_f64 v[101:102], v[52:53], s[14:15], v[74:75]
	s_waitcnt lgkmcnt(3)
	v_add_f64 v[70:71], v[97:98], v[107:108]
	v_add_f64 v[72:73], v[72:73], v[42:43]
	s_waitcnt lgkmcnt(1)
	v_add_f64 v[113:114], v[95:96], -v[46:47]
	v_add_f64 v[48:49], v[48:49], v[111:112]
	v_fma_f64 v[111:112], v[52:53], s[4:5], v[74:75]
	v_fma_f64 v[58:59], v[76:77], -0.5, v[58:59]
	v_fma_f64 v[74:75], v[87:88], s[8:9], v[56:57]
	v_fma_f64 v[101:102], v[40:41], s[16:17], v[101:102]
	v_add_f64 v[56:57], v[89:90], v[93:94]
	v_fma_f64 v[76:77], v[70:71], -0.5, v[89:90]
	v_fma_f64 v[64:65], v[87:88], s[8:9], v[78:79]
	v_add_f64 v[78:79], v[72:73], v[68:69]
	v_fma_f64 v[72:73], v[40:41], s[6:7], v[111:112]
	v_fma_f64 v[87:88], v[40:41], s[4:5], v[58:59]
	v_add_f64 v[50:51], v[50:51], -v[54:55]
	v_fma_f64 v[70:71], v[48:49], s[8:9], v[101:102]
	v_add_f64 v[42:43], v[42:43], -v[68:69]
	v_add_f64 v[54:55], v[56:57], v[97:98]
	v_fma_f64 v[56:57], v[113:114], s[4:5], v[76:77]
	v_add_f64 v[68:69], v[99:100], -v[109:110]
	v_add_f64 v[101:102], v[93:94], v[44:45]
	v_add_f64 v[111:112], v[93:94], -v[97:98]
	v_add_f64 v[115:116], v[44:45], -v[107:108]
	v_fma_f64 v[40:41], v[40:41], s[14:15], v[58:59]
	v_fma_f64 v[117:118], v[52:53], s[16:17], v[87:88]
	v_add_f64 v[42:43], v[50:51], v[42:43]
	v_fma_f64 v[87:88], v[48:49], s[8:9], v[72:73]
	v_add_f64 v[48:49], v[54:55], v[107:108]
	v_fma_f64 v[50:51], v[101:102], -0.5, v[89:90]
	v_fma_f64 v[54:55], v[68:69], s[6:7], v[56:57]
	v_add_f64 v[56:57], v[111:112], v[115:116]
	v_add_f64 v[58:59], v[99:100], v[109:110]
	v_fma_f64 v[40:41], v[52:53], s[6:7], v[40:41]
	v_add_f64 v[52:53], v[95:96], v[46:47]
	v_fma_f64 v[72:73], v[113:114], s[14:15], v[76:77]
	;; [unrolled: 2-line block ×3, first 2 shown]
	v_add_f64 v[111:112], v[97:98], -v[107:108]
	v_fma_f64 v[48:49], v[56:57], s[8:9], v[54:55]
	v_fma_f64 v[54:55], v[58:59], -0.5, v[91:92]
	v_add_f64 v[58:59], v[93:94], -v[44:45]
	v_fma_f64 v[52:53], v[52:53], -0.5, v[91:92]
	v_fma_f64 v[72:73], v[68:69], s[16:17], v[72:73]
	v_fma_f64 v[50:51], v[68:69], s[4:5], v[50:51]
	v_add_f64 v[68:69], v[91:92], v[95:96]
	v_fma_f64 v[89:90], v[42:43], s[8:9], v[117:118]
	v_add_f64 v[93:94], v[97:98], -v[93:94]
	v_add_f64 v[44:45], v[107:108], -v[44:45]
	v_fma_f64 v[91:92], v[58:59], s[14:15], v[54:55]
	v_fma_f64 v[97:98], v[111:112], s[4:5], v[52:53]
	v_add_f64 v[107:108], v[99:100], -v[95:96]
	v_add_f64 v[115:116], v[109:110], -v[46:47]
	;; [unrolled: 1-line block ×4, first 2 shown]
	v_fma_f64 v[52:53], v[111:112], s[14:15], v[52:53]
	v_add_f64 v[68:69], v[68:69], v[99:100]
	v_fma_f64 v[54:55], v[58:59], s[4:5], v[54:55]
	v_fma_f64 v[76:77], v[113:114], s[6:7], v[76:77]
	v_add_f64 v[44:45], v[93:94], v[44:45]
	v_fma_f64 v[50:51], v[113:114], s[16:17], v[50:51]
	;; [unrolled: 3-line block ×3, first 2 shown]
	v_add_f64 v[95:96], v[95:96], v[117:118]
	v_fma_f64 v[52:53], v[58:59], s[6:7], v[52:53]
	v_fma_f64 v[58:59], v[56:57], s[8:9], v[72:73]
	v_add_f64 v[68:69], v[68:69], v[109:110]
	v_fma_f64 v[54:55], v[111:112], s[6:7], v[54:55]
	s_mov_b32 s18, 0x9b97f4a8
	s_mov_b32 s19, 0x3fe9e377
	v_fma_f64 v[56:57], v[44:45], s[8:9], v[76:77]
	v_fma_f64 v[44:45], v[44:45], s[8:9], v[50:51]
	;; [unrolled: 1-line block ×5, first 2 shown]
	v_mul_f64 v[76:77], v[48:49], s[18:19]
	v_fma_f64 v[97:98], v[42:43], s[8:9], v[40:41]
	v_add_f64 v[99:100], v[68:69], v[46:47]
	v_fma_f64 v[42:43], v[95:96], s[8:9], v[54:55]
	v_mul_f64 v[46:47], v[58:59], s[18:19]
	v_mul_f64 v[91:92], v[50:51], s[4:5]
	;; [unrolled: 1-line block ×4, first 2 shown]
	v_fma_f64 v[68:69], v[72:73], s[6:7], v[76:77]
	v_mul_f64 v[76:77], v[56:57], s[14:15]
	v_mul_f64 v[95:96], v[52:53], s[8:9]
	v_add_f64 v[115:116], v[36:37], v[32:33]
	v_fma_f64 v[109:110], v[42:43], s[6:7], -v[46:47]
	v_add_f64 v[117:118], v[0:1], v[4:5]
	v_add_f64 v[40:41], v[60:61], v[101:102]
	v_fma_f64 v[91:92], v[56:57], s[8:9], v[91:92]
	v_fma_f64 v[93:94], v[52:53], s[4:5], -v[93:94]
	v_mul_f64 v[107:108], v[42:43], s[18:19]
	v_add_f64 v[56:57], v[62:63], v[68:69]
	v_fma_f64 v[111:112], v[72:73], s[18:19], v[54:55]
	v_fma_f64 v[113:114], v[50:51], s[8:9], v[76:77]
	v_fma_f64 v[95:96], v[44:45], s[14:15], -v[95:96]
	v_add_f64 v[44:45], v[66:67], v[109:110]
	v_add_f64 v[76:77], v[60:61], -v[101:102]
	v_add_f64 v[72:73], v[62:63], -v[68:69]
	v_add_f64 v[62:63], v[115:116], v[0:1]
	v_fma_f64 v[101:102], v[117:118], -0.5, v[36:37]
	v_add_f64 v[115:116], v[34:35], -v[30:31]
	v_add_f64 v[60:61], v[66:67], -v[109:110]
	v_add_f64 v[66:67], v[32:33], v[28:29]
	v_add_f64 v[52:53], v[64:65], v[91:92]
	;; [unrolled: 1-line block ×3, first 2 shown]
	v_fma_f64 v[107:108], v[58:59], s[16:17], -v[107:108]
	v_add_f64 v[42:43], v[78:79], v[99:100]
	v_add_f64 v[58:59], v[70:71], v[111:112]
	;; [unrolled: 1-line block ×3, first 2 shown]
	v_add_f64 v[68:69], v[64:65], -v[91:92]
	v_add_f64 v[64:65], v[74:75], -v[93:94]
	;; [unrolled: 1-line block ×4, first 2 shown]
	v_fma_f64 v[93:94], v[115:116], s[4:5], v[101:102]
	v_add_f64 v[99:100], v[2:3], -v[6:7]
	v_add_f64 v[109:110], v[32:33], -v[0:1]
	;; [unrolled: 1-line block ×4, first 2 shown]
	v_fma_f64 v[89:90], v[66:67], -0.5, v[36:37]
	v_add_f64 v[50:51], v[97:98], v[95:96]
	v_add_f64 v[46:47], v[87:88], v[107:108]
	;; [unrolled: 1-line block ×3, first 2 shown]
	v_add_f64 v[66:67], v[97:98], -v[95:96]
	v_add_f64 v[62:63], v[87:88], -v[107:108]
	v_fma_f64 v[87:88], v[99:100], s[6:7], v[93:94]
	v_add_f64 v[93:94], v[109:110], v[111:112]
	v_fma_f64 v[95:96], v[115:116], s[14:15], v[101:102]
	v_fma_f64 v[97:98], v[99:100], s[14:15], v[89:90]
	v_add_f64 v[101:102], v[0:1], -v[32:33]
	v_add_f64 v[107:108], v[4:5], -v[28:29]
	v_add_f64 v[36:37], v[91:92], v[28:29]
	v_add_f64 v[91:92], v[2:3], v[6:7]
	v_fma_f64 v[89:90], v[99:100], s[4:5], v[89:90]
	v_add_f64 v[109:110], v[38:39], v[34:35]
	v_add_f64 v[111:112], v[32:33], -v[28:29]
	v_fma_f64 v[28:29], v[93:94], s[8:9], v[87:88]
	v_fma_f64 v[32:33], v[99:100], s[16:17], v[95:96]
	;; [unrolled: 1-line block ×3, first 2 shown]
	v_add_f64 v[95:96], v[101:102], v[107:108]
	v_add_f64 v[97:98], v[34:35], v[30:31]
	v_fma_f64 v[91:92], v[91:92], -0.5, v[38:39]
	v_fma_f64 v[89:90], v[115:116], s[16:17], v[89:90]
	v_add_f64 v[99:100], v[109:110], v[2:3]
	v_add_f64 v[0:1], v[0:1], -v[4:5]
	v_fma_f64 v[32:33], v[93:94], s[8:9], v[32:33]
	v_add_f64 v[4:5], v[34:35], -v[2:3]
	v_add_f64 v[93:94], v[30:31], -v[6:7]
	v_fma_f64 v[107:108], v[95:96], s[8:9], v[87:88]
	v_fma_f64 v[87:88], v[97:98], -0.5, v[38:39]
	v_add_f64 v[97:98], v[20:21], v[8:9]
	v_fma_f64 v[101:102], v[111:112], s[14:15], v[91:92]
	v_fma_f64 v[38:39], v[95:96], s[8:9], v[89:90]
	v_add_f64 v[89:90], v[99:100], v[6:7]
	v_add_f64 v[99:100], v[16:17], v[24:25]
	;; [unrolled: 1-line block ×3, first 2 shown]
	v_fma_f64 v[91:92], v[111:112], s[4:5], v[91:92]
	v_fma_f64 v[93:94], v[0:1], s[4:5], v[87:88]
	v_add_f64 v[2:3], v[2:3], -v[34:35]
	v_add_f64 v[6:7], v[6:7], -v[30:31]
	v_add_f64 v[97:98], v[97:98], v[16:17]
	v_fma_f64 v[95:96], v[0:1], s[16:17], v[101:102]
	v_fma_f64 v[87:88], v[0:1], s[14:15], v[87:88]
	v_fma_f64 v[99:100], v[99:100], -0.5, v[20:21]
	s_waitcnt lgkmcnt(0)
	v_add_f64 v[101:102], v[10:11], -v[14:15]
	v_add_f64 v[30:31], v[89:90], v[30:31]
	v_fma_f64 v[0:1], v[0:1], s[6:7], v[91:92]
	v_fma_f64 v[89:90], v[111:112], s[16:17], v[93:94]
	v_add_f64 v[2:3], v[2:3], v[6:7]
	v_add_f64 v[93:94], v[97:98], v[24:25]
	v_fma_f64 v[34:35], v[4:5], s[8:9], v[95:96]
	v_fma_f64 v[6:7], v[111:112], s[6:7], v[87:88]
	;; [unrolled: 1-line block ×3, first 2 shown]
	v_add_f64 v[97:98], v[18:19], -v[26:27]
	v_add_f64 v[109:110], v[8:9], -v[16:17]
	;; [unrolled: 1-line block ×3, first 2 shown]
	v_fma_f64 v[91:92], v[4:5], s[8:9], v[0:1]
	v_add_f64 v[0:1], v[8:9], v[12:13]
	v_fma_f64 v[113:114], v[2:3], s[8:9], v[89:90]
	v_add_f64 v[89:90], v[93:94], v[12:13]
	v_add_f64 v[4:5], v[10:11], v[14:15]
	v_fma_f64 v[93:94], v[101:102], s[14:15], v[99:100]
	v_add_f64 v[99:100], v[18:19], v[26:27]
	v_fma_f64 v[87:88], v[2:3], s[8:9], v[6:7]
	v_fma_f64 v[2:3], v[97:98], s[6:7], v[95:96]
	v_add_f64 v[6:7], v[109:110], v[111:112]
	v_fma_f64 v[0:1], v[0:1], -0.5, v[20:21]
	v_add_f64 v[20:21], v[16:17], -v[8:9]
	v_add_f64 v[95:96], v[24:25], -v[12:13]
	;; [unrolled: 1-line block ×3, first 2 shown]
	v_fma_f64 v[4:5], v[4:5], -0.5, v[22:23]
	v_add_f64 v[109:110], v[22:23], v[10:11]
	v_fma_f64 v[22:23], v[99:100], -0.5, v[22:23]
	v_add_f64 v[8:9], v[8:9], -v[12:13]
	v_fma_f64 v[24:25], v[97:98], s[16:17], v[93:94]
	v_fma_f64 v[93:94], v[97:98], s[14:15], v[0:1]
	v_add_f64 v[20:21], v[20:21], v[95:96]
	v_add_f64 v[95:96], v[18:19], -v[10:11]
	v_fma_f64 v[12:13], v[16:17], s[4:5], v[4:5]
	v_add_f64 v[99:100], v[26:27], -v[14:15]
	v_fma_f64 v[0:1], v[97:98], s[4:5], v[0:1]
	v_add_f64 v[97:98], v[109:110], v[18:19]
	v_add_f64 v[10:11], v[10:11], -v[18:19]
	v_add_f64 v[18:19], v[14:15], -v[26:27]
	v_fma_f64 v[4:5], v[16:17], s[14:15], v[4:5]
	v_fma_f64 v[109:110], v[8:9], s[4:5], v[22:23]
	v_fma_f64 v[12:13], v[8:9], s[16:17], v[12:13]
	v_add_f64 v[95:96], v[95:96], v[99:100]
	v_fma_f64 v[0:1], v[101:102], s[16:17], v[0:1]
	v_fma_f64 v[93:94], v[101:102], s[6:7], v[93:94]
	v_fma_f64 v[22:23], v[8:9], s[14:15], v[22:23]
	v_add_f64 v[10:11], v[10:11], v[18:19]
	;; [unrolled: 4-line block ×3, first 2 shown]
	v_fma_f64 v[12:13], v[95:96], s[8:9], v[12:13]
	v_fma_f64 v[0:1], v[20:21], s[8:9], v[0:1]
	;; [unrolled: 1-line block ×7, first 2 shown]
	v_add_f64 v[24:25], v[18:19], v[14:15]
	v_mul_f64 v[14:15], v[12:13], s[4:5]
	v_mul_f64 v[18:19], v[0:1], s[8:9]
	;; [unrolled: 1-line block ×3, first 2 shown]
	v_fma_f64 v[10:11], v[10:11], s[8:9], v[16:17]
	v_mul_f64 v[16:17], v[20:21], s[14:15]
	v_mul_f64 v[95:96], v[4:5], s[8:9]
	v_mul_f64 v[97:98], v[8:9], s[18:19]
	v_mul_f64 v[99:100], v[2:3], s[18:19]
	v_mul_f64 v[2:3], v[2:3], s[16:17]
	v_fma_f64 v[14:15], v[20:21], s[8:9], v[14:15]
	v_fma_f64 v[26:27], v[4:5], s[4:5], -v[18:19]
	v_fma_f64 v[93:94], v[8:9], s[6:7], -v[22:23]
	v_fma_f64 v[22:23], v[12:13], s[8:9], v[16:17]
	v_fma_f64 v[95:96], v[0:1], s[14:15], -v[95:96]
	v_fma_f64 v[101:102], v[6:7], s[16:17], -v[97:98]
	v_fma_f64 v[97:98], v[10:11], s[6:7], v[99:100]
	v_fma_f64 v[99:100], v[10:11], s[18:19], v[2:3]
	v_add_f64 v[0:1], v[107:108], v[14:15]
	v_add_f64 v[4:5], v[38:39], v[26:27]
	;; [unrolled: 1-line block ×6, first 2 shown]
	v_add_f64 v[12:13], v[36:37], -v[89:90]
	v_add_f64 v[16:17], v[28:29], -v[97:98]
	;; [unrolled: 1-line block ×6, first 2 shown]
	v_mul_u32_u24_e32 v107, 10, v82
	s_movk_i32 s4, 0x48
	v_lshl_add_u32 v107, v107, 4, v103
	v_cmp_gt_u32_e32 vcc, s4, v82
	s_barrier
	ds_write_b128 v107, v[40:43]
	ds_write_b128 v107, v[56:59] offset:16
	ds_write_b128 v107, v[52:55] offset:32
	;; [unrolled: 1-line block ×9, first 2 shown]
	s_and_saveexec_b64 s[4:5], vcc
	s_cbranch_execz .LBB0_15
; %bb.14:
	v_add_f64 v[50:51], v[30:31], v[24:25]
	v_add_f64 v[48:49], v[36:37], v[89:90]
	;; [unrolled: 1-line block ×4, first 2 shown]
	v_mul_i32_i24_e32 v24, 10, v86
	v_lshlrev_b32_e32 v24, 4, v24
	v_add3_u32 v24, 0, v24, v83
	v_add_f64 v[42:43], v[91:92], -v[101:102]
	v_add_f64 v[28:29], v[87:88], -v[95:96]
	;; [unrolled: 1-line block ×4, first 2 shown]
	ds_write_b128 v24, v[48:51]
	ds_write_b128 v24, v[44:47] offset:16
	ds_write_b128 v24, v[0:3] offset:32
	;; [unrolled: 1-line block ×9, first 2 shown]
.LBB0_15:
	s_or_b64 exec, exec, s[4:5]
	v_lshlrev_b32_e32 v24, 4, v86
	s_waitcnt lgkmcnt(0)
	s_barrier
	ds_read_b128 v[28:31], v104
	ds_read_b128 v[56:59], v106 offset:5120
	v_add3_u32 v72, 0, v24, v83
	ds_read_b128 v[68:71], v106 offset:10240
	ds_read_b128 v[48:51], v106 offset:7040
	;; [unrolled: 1-line block ×8, first 2 shown]
	ds_read_b128 v[24:27], v72
	ds_read_b128 v[32:35], v106 offset:27520
	s_movk_i32 s4, 0x50
	v_cmp_gt_u32_e32 vcc, s4, v82
	s_and_saveexec_b64 s[4:5], vcc
	s_cbranch_execz .LBB0_17
; %bb.16:
	ds_read_b128 v[0:3], v106 offset:3840
	ds_read_b128 v[4:7], v106 offset:8960
	;; [unrolled: 1-line block ×6, first 2 shown]
.LBB0_17:
	s_or_b64 exec, exec, s[4:5]
	s_movk_i32 s4, 0xcd
	v_mul_lo_u16_sdwa v73, v82, s4 dst_sel:DWORD dst_unused:UNUSED_PAD src0_sel:BYTE_0 src1_sel:DWORD
	v_lshrrev_b16_e32 v73, 11, v73
	v_mul_lo_u16_e32 v74, 10, v73
	v_sub_u16_e32 v74, v82, v74
	v_mov_b32_e32 v79, 5
	v_mul_u32_u24_sdwa v75, v74, v79 dst_sel:DWORD dst_unused:UNUSED_PAD src0_sel:BYTE_0 src1_sel:DWORD
	v_lshlrev_b32_e32 v101, 4, v75
	global_load_dwordx4 v[75:78], v101, s[12:13] offset:48
	global_load_dwordx4 v[87:90], v101, s[12:13] offset:32
	;; [unrolled: 1-line block ×3, first 2 shown]
	global_load_dwordx4 v[95:98], v101, s[12:13]
	s_mov_b32 s7, 0xbfebb67a
	s_movk_i32 s8, 0x3c0
	s_waitcnt vmcnt(0) lgkmcnt(10)
	v_mul_f64 v[99:100], v[58:59], v[97:98]
	v_fma_f64 v[99:100], v[56:57], v[95:96], -v[99:100]
	v_mul_f64 v[56:57], v[56:57], v[97:98]
	v_fma_f64 v[95:96], v[58:59], v[95:96], v[56:57]
	s_waitcnt lgkmcnt(9)
	v_mul_f64 v[56:57], v[70:71], v[93:94]
	v_fma_f64 v[97:98], v[68:69], v[91:92], -v[56:57]
	v_mul_f64 v[56:57], v[68:69], v[93:94]
	v_fma_f64 v[70:71], v[70:71], v[91:92], v[56:57]
	s_waitcnt lgkmcnt(7)
	;; [unrolled: 5-line block ×3, first 2 shown]
	v_mul_f64 v[56:57], v[62:63], v[77:78]
	v_fma_f64 v[89:90], v[60:61], v[75:76], -v[56:57]
	v_mul_f64 v[56:57], v[60:61], v[77:78]
	v_fma_f64 v[75:76], v[62:63], v[75:76], v[56:57]
	global_load_dwordx4 v[56:59], v101, s[12:13] offset:64
	s_waitcnt vmcnt(0) lgkmcnt(3)
	v_mul_f64 v[60:61], v[54:55], v[58:59]
	v_fma_f64 v[77:78], v[52:53], v[56:57], -v[60:61]
	v_mul_f64 v[52:53], v[52:53], v[58:59]
	v_fma_f64 v[93:94], v[54:55], v[56:57], v[52:53]
	v_mul_lo_u16_sdwa v52, v86, s4 dst_sel:DWORD dst_unused:UNUSED_PAD src0_sel:BYTE_0 src1_sel:DWORD
	v_lshrrev_b16_e32 v52, 11, v52
	v_mul_lo_u16_e32 v53, 10, v52
	v_sub_u16_e32 v53, v86, v53
	v_mul_u32_u24_sdwa v54, v53, v79 dst_sel:DWORD dst_unused:UNUSED_PAD src0_sel:BYTE_0 src1_sel:DWORD
	v_lshlrev_b32_e32 v79, 4, v54
	global_load_dwordx4 v[54:57], v79, s[12:13] offset:48
	global_load_dwordx4 v[58:61], v79, s[12:13] offset:32
	;; [unrolled: 1-line block ×3, first 2 shown]
	global_load_dwordx4 v[66:69], v79, s[12:13]
	s_mov_b32 s4, 0xe8584caa
	s_mov_b32 s5, 0x3febb67a
	;; [unrolled: 1-line block ×3, first 2 shown]
	s_waitcnt vmcnt(0)
	v_mul_f64 v[101:102], v[50:51], v[68:69]
	v_fma_f64 v[101:102], v[48:49], v[66:67], -v[101:102]
	v_mul_f64 v[48:49], v[48:49], v[68:69]
	v_fma_f64 v[66:67], v[50:51], v[66:67], v[48:49]
	v_mul_f64 v[48:49], v[46:47], v[64:65]
	v_fma_f64 v[68:69], v[44:45], v[62:63], -v[48:49]
	v_mul_f64 v[44:45], v[44:45], v[64:65]
	v_fma_f64 v[62:63], v[46:47], v[62:63], v[44:45]
	;; [unrolled: 4-line block ×3, first 2 shown]
	s_waitcnt lgkmcnt(2)
	v_mul_f64 v[40:41], v[38:39], v[56:57]
	v_fma_f64 v[60:61], v[36:37], v[54:55], -v[40:41]
	v_mul_f64 v[36:37], v[36:37], v[56:57]
	v_fma_f64 v[54:55], v[38:39], v[54:55], v[36:37]
	global_load_dwordx4 v[36:39], v79, s[12:13] offset:64
	s_waitcnt vmcnt(0) lgkmcnt(0)
	s_barrier
	v_mul_f64 v[40:41], v[34:35], v[38:39]
	v_fma_f64 v[56:57], v[32:33], v[36:37], -v[40:41]
	v_mul_f64 v[32:33], v[32:33], v[38:39]
	v_fma_f64 v[107:108], v[34:35], v[36:37], v[32:33]
	v_add_f64 v[32:33], v[28:29], v[97:98]
	v_add_f64 v[40:41], v[32:33], v[89:90]
	;; [unrolled: 1-line block ×3, first 2 shown]
	v_fma_f64 v[28:29], v[32:33], -0.5, v[28:29]
	v_add_f64 v[32:33], v[70:71], -v[75:76]
	v_fma_f64 v[42:43], v[32:33], s[4:5], v[28:29]
	v_fma_f64 v[46:47], v[32:33], s[6:7], v[28:29]
	v_add_f64 v[28:29], v[30:31], v[70:71]
	v_add_f64 v[50:51], v[28:29], v[75:76]
	;; [unrolled: 1-line block ×3, first 2 shown]
	v_fma_f64 v[28:29], v[28:29], -0.5, v[30:31]
	v_add_f64 v[30:31], v[97:98], -v[89:90]
	v_fma_f64 v[70:71], v[30:31], s[6:7], v[28:29]
	v_fma_f64 v[75:76], v[30:31], s[4:5], v[28:29]
	v_add_f64 v[28:29], v[99:100], v[91:92]
	v_add_f64 v[30:31], v[87:88], -v[93:94]
	v_add_f64 v[44:45], v[28:29], v[77:78]
	v_add_f64 v[28:29], v[91:92], v[77:78]
	v_fma_f64 v[28:29], v[28:29], -0.5, v[99:100]
	v_fma_f64 v[34:35], v[30:31], s[4:5], v[28:29]
	v_fma_f64 v[38:39], v[30:31], s[6:7], v[28:29]
	v_add_f64 v[28:29], v[95:96], v[87:88]
	v_add_f64 v[30:31], v[91:92], -v[77:78]
	v_add_f64 v[89:90], v[28:29], v[93:94]
	v_add_f64 v[28:29], v[87:88], v[93:94]
	v_fma_f64 v[28:29], v[28:29], -0.5, v[95:96]
	v_fma_f64 v[48:49], v[30:31], s[6:7], v[28:29]
	v_fma_f64 v[77:78], v[30:31], s[4:5], v[28:29]
	v_add_f64 v[28:29], v[40:41], v[44:45]
	v_add_f64 v[40:41], v[40:41], -v[44:45]
	v_mul_f64 v[30:31], v[48:49], s[4:5]
	v_fma_f64 v[87:88], v[34:35], 0.5, v[30:31]
	v_mul_f64 v[34:35], v[34:35], s[6:7]
	v_mul_f64 v[30:31], v[38:39], -0.5
	v_add_f64 v[32:33], v[42:43], v[87:88]
	v_fma_f64 v[93:94], v[48:49], 0.5, v[34:35]
	v_mul_f64 v[48:49], v[77:78], -0.5
	v_fma_f64 v[91:92], v[77:78], s[4:5], v[30:31]
	v_add_f64 v[30:31], v[50:51], v[89:90]
	v_add_f64 v[44:45], v[42:43], -v[87:88]
	v_add_f64 v[42:43], v[50:51], -v[89:90]
	v_add_f64 v[34:35], v[70:71], v[93:94]
	v_fma_f64 v[77:78], v[38:39], s[6:7], v[48:49]
	v_add_f64 v[36:37], v[46:47], v[91:92]
	v_add_f64 v[48:49], v[46:47], -v[91:92]
	v_add_f64 v[46:47], v[70:71], -v[93:94]
	v_add_f64 v[70:71], v[24:25], v[68:69]
	v_add_f64 v[38:39], v[75:76], v[77:78]
	v_add_f64 v[50:51], v[75:76], -v[77:78]
	v_add_f64 v[75:76], v[68:69], v[60:61]
	v_add_f64 v[70:71], v[70:71], v[60:61]
	v_fma_f64 v[24:25], v[75:76], -0.5, v[24:25]
	v_add_f64 v[75:76], v[62:63], -v[54:55]
	v_fma_f64 v[77:78], v[75:76], s[4:5], v[24:25]
	v_fma_f64 v[75:76], v[75:76], s[6:7], v[24:25]
	v_add_f64 v[24:25], v[26:27], v[62:63]
	v_add_f64 v[87:88], v[24:25], v[54:55]
	;; [unrolled: 1-line block ×3, first 2 shown]
	v_fma_f64 v[24:25], v[24:25], -0.5, v[26:27]
	v_add_f64 v[26:27], v[68:69], -v[60:61]
	v_fma_f64 v[68:69], v[26:27], s[6:7], v[24:25]
	v_fma_f64 v[89:90], v[26:27], s[4:5], v[24:25]
	v_add_f64 v[24:25], v[101:102], v[64:65]
	v_add_f64 v[26:27], v[58:59], -v[107:108]
	v_add_f64 v[62:63], v[24:25], v[56:57]
	v_add_f64 v[24:25], v[64:65], v[56:57]
	v_fma_f64 v[24:25], v[24:25], -0.5, v[101:102]
	v_fma_f64 v[60:61], v[26:27], s[4:5], v[24:25]
	v_fma_f64 v[91:92], v[26:27], s[6:7], v[24:25]
	v_add_f64 v[24:25], v[66:67], v[58:59]
	v_add_f64 v[26:27], v[64:65], -v[56:57]
	v_add_f64 v[93:94], v[24:25], v[107:108]
	v_add_f64 v[24:25], v[58:59], v[107:108]
	v_fma_f64 v[24:25], v[24:25], -0.5, v[66:67]
	v_fma_f64 v[56:57], v[26:27], s[6:7], v[24:25]
	v_fma_f64 v[64:65], v[26:27], s[4:5], v[24:25]
	v_add_f64 v[24:25], v[70:71], v[62:63]
	v_add_f64 v[62:63], v[70:71], -v[62:63]
	v_mov_b32_e32 v71, 4
	v_mad_u32_u24 v70, v73, s8, 0
	v_lshlrev_b32_sdwa v73, v71, v74 dst_sel:DWORD dst_unused:UNUSED_PAD src0_sel:DWORD src1_sel:BYTE_0
	v_add3_u32 v70, v70, v73, v83
	v_mul_f64 v[26:27], v[56:57], s[4:5]
	ds_write_b128 v70, v[28:31]
	ds_write_b128 v70, v[32:35] offset:160
	ds_write_b128 v70, v[36:39] offset:320
	;; [unrolled: 1-line block ×5, first 2 shown]
	v_mad_u32_u24 v28, v52, s8, 0
	v_lshlrev_b32_sdwa v29, v71, v53 dst_sel:DWORD dst_unused:UNUSED_PAD src0_sel:DWORD src1_sel:BYTE_0
	v_add3_u32 v28, v28, v29, v83
	v_fma_f64 v[66:67], v[60:61], 0.5, v[26:27]
	v_mul_f64 v[60:61], v[60:61], s[6:7]
	v_mul_f64 v[26:27], v[91:92], -0.5
	v_add_f64 v[54:55], v[77:78], v[66:67]
	v_fma_f64 v[97:98], v[56:57], 0.5, v[60:61]
	v_mul_f64 v[60:61], v[64:65], -0.5
	v_fma_f64 v[95:96], v[64:65], s[4:5], v[26:27]
	v_add_f64 v[26:27], v[87:88], v[93:94]
	v_add_f64 v[64:65], v[87:88], -v[93:94]
	v_add_f64 v[66:67], v[77:78], -v[66:67]
	v_add_f64 v[56:57], v[68:69], v[97:98]
	v_fma_f64 v[91:92], v[91:92], s[6:7], v[60:61]
	v_add_f64 v[58:59], v[75:76], v[95:96]
	v_add_f64 v[68:69], v[68:69], -v[97:98]
	v_add_f64 v[75:76], v[75:76], -v[95:96]
	v_add_f64 v[60:61], v[89:90], v[91:92]
	v_add_f64 v[77:78], v[89:90], -v[91:92]
	ds_write_b128 v28, v[24:27]
	ds_write_b128 v28, v[54:57] offset:160
	ds_write_b128 v28, v[58:61] offset:320
	;; [unrolled: 1-line block ×5, first 2 shown]
	s_and_saveexec_b64 s[8:9], vcc
	s_cbranch_execz .LBB0_19
; %bb.18:
	v_add_u32_e32 v24, 0xf0, v82
	s_mov_b32 s14, 0xcccd
	v_mul_u32_u24_sdwa v25, v24, s14 dst_sel:DWORD dst_unused:UNUSED_PAD src0_sel:WORD_0 src1_sel:DWORD
	v_lshrrev_b32_e32 v54, 19, v25
	v_mul_lo_u16_e32 v25, 10, v54
	v_sub_u16_e32 v55, v24, v25
	v_mul_u32_u24_e32 v24, 5, v55
	v_lshlrev_b32_e32 v44, 4, v24
	global_load_dwordx4 v[24:27], v44, s[12:13] offset:16
	global_load_dwordx4 v[28:31], v44, s[12:13] offset:48
	;; [unrolled: 1-line block ×4, first 2 shown]
	global_load_dwordx4 v[40:43], v44, s[12:13]
	s_waitcnt vmcnt(4)
	v_mul_f64 v[44:45], v[10:11], v[26:27]
	v_mul_f64 v[26:27], v[8:9], v[26:27]
	s_waitcnt vmcnt(2)
	v_mul_f64 v[48:49], v[14:15], v[34:35]
	v_mul_f64 v[34:35], v[12:13], v[34:35]
	;; [unrolled: 3-line block ×3, first 2 shown]
	v_mul_f64 v[46:47], v[18:19], v[30:31]
	v_mul_f64 v[30:31], v[16:17], v[30:31]
	s_waitcnt vmcnt(0)
	v_mul_f64 v[52:53], v[6:7], v[42:43]
	v_mul_f64 v[42:43], v[4:5], v[42:43]
	v_fma_f64 v[12:13], v[12:13], v[32:33], -v[48:49]
	v_fma_f64 v[14:15], v[14:15], v[32:33], v[34:35]
	v_fma_f64 v[22:23], v[22:23], v[36:37], v[50:51]
	v_fma_f64 v[20:21], v[20:21], v[36:37], -v[38:39]
	v_fma_f64 v[8:9], v[8:9], v[24:25], -v[44:45]
	v_fma_f64 v[10:11], v[10:11], v[24:25], v[26:27]
	v_mul_lo_u16_e32 v24, 60, v54
	v_fma_f64 v[18:19], v[18:19], v[28:29], v[30:31]
	v_lshlrev_b32_e32 v38, 4, v24
	v_fma_f64 v[4:5], v[4:5], v[40:41], -v[52:53]
	v_fma_f64 v[6:7], v[6:7], v[40:41], v[42:43]
	v_add_f64 v[24:25], v[14:15], v[22:23]
	v_add_f64 v[26:27], v[12:13], v[20:21]
	v_fma_f64 v[16:17], v[16:17], v[28:29], -v[46:47]
	v_add_f64 v[32:33], v[14:15], -v[22:23]
	v_add_f64 v[30:31], v[10:11], v[18:19]
	v_add_f64 v[34:35], v[12:13], -v[20:21]
	v_add_f64 v[36:37], v[2:3], v[10:11]
	v_add_f64 v[14:15], v[6:7], v[14:15]
	v_fma_f64 v[6:7], v[24:25], -0.5, v[6:7]
	v_fma_f64 v[24:25], v[26:27], -0.5, v[4:5]
	v_add_f64 v[28:29], v[8:9], -v[16:17]
	v_add_f64 v[26:27], v[8:9], v[16:17]
	v_add_f64 v[10:11], v[10:11], -v[18:19]
	v_add_f64 v[4:5], v[4:5], v[12:13]
	v_fma_f64 v[2:3], v[30:31], -0.5, v[2:3]
	v_add_f64 v[12:13], v[36:37], v[18:19]
	v_fma_f64 v[18:19], v[34:35], s[4:5], v[6:7]
	v_fma_f64 v[30:31], v[32:33], s[4:5], v[24:25]
	;; [unrolled: 1-line block ×3, first 2 shown]
	v_add_f64 v[8:9], v[0:1], v[8:9]
	v_add_f64 v[14:15], v[14:15], v[22:23]
	v_fma_f64 v[22:23], v[32:33], s[6:7], v[24:25]
	v_fma_f64 v[0:1], v[26:27], -0.5, v[0:1]
	v_add_f64 v[4:5], v[4:5], v[20:21]
	v_fma_f64 v[24:25], v[28:29], s[4:5], v[2:3]
	v_mul_f64 v[20:21], v[30:31], s[6:7]
	v_fma_f64 v[26:27], v[28:29], s[6:7], v[2:3]
	v_mul_f64 v[28:29], v[6:7], s[4:5]
	v_add_f64 v[8:9], v[8:9], v[16:17]
	v_mul_f64 v[16:17], v[18:19], -0.5
	v_mul_f64 v[32:33], v[22:23], -0.5
	v_fma_f64 v[36:37], v[10:11], s[4:5], v[0:1]
	v_fma_f64 v[34:35], v[10:11], s[6:7], v[0:1]
	v_fma_f64 v[20:21], v[6:7], 0.5, v[20:21]
	v_add_f64 v[6:7], v[12:13], v[14:15]
	v_fma_f64 v[28:29], v[30:31], 0.5, v[28:29]
	v_add_f64 v[0:1], v[8:9], -v[4:5]
	v_fma_f64 v[16:17], v[22:23], s[6:7], v[16:17]
	v_fma_f64 v[30:31], v[18:19], s[4:5], v[32:33]
	v_add_f64 v[4:5], v[8:9], v[4:5]
	v_add_f64 v[2:3], v[12:13], -v[14:15]
	v_add_f64 v[14:15], v[26:27], -v[20:21]
	v_add_f64 v[22:23], v[26:27], v[20:21]
	v_add_f64 v[20:21], v[36:37], v[28:29]
	v_add_f64 v[12:13], v[36:37], -v[28:29]
	v_add_f64 v[10:11], v[24:25], -v[16:17]
	v_add_f64 v[18:19], v[24:25], v[16:17]
	v_add_f64 v[16:17], v[34:35], v[30:31]
	v_add_f64 v[8:9], v[34:35], -v[30:31]
	v_lshl_add_u32 v24, v55, 4, 0
	v_add3_u32 v24, v24, v38, v83
	ds_write_b128 v24, v[4:7]
	ds_write_b128 v24, v[0:3] offset:480
	ds_write_b128 v24, v[20:23] offset:160
	;; [unrolled: 1-line block ×5, first 2 shown]
.LBB0_19:
	s_or_b64 exec, exec, s[8:9]
	v_subrev_u32_e32 v0, 60, v82
	v_cmp_gt_u32_e32 vcc, 60, v82
	v_cndmask_b32_e32 v2, v0, v82, vcc
	v_mul_i32_i24_e32 v0, 15, v2
	v_mov_b32_e32 v1, 0
	v_lshlrev_b64 v[3:4], 4, v[0:1]
	v_mov_b32_e32 v0, s13
	v_add_co_u32_e32 v63, vcc, s12, v3
	v_addc_co_u32_e32 v64, vcc, v0, v4, vcc
	s_waitcnt lgkmcnt(0)
	s_barrier
	global_load_dwordx4 v[3:6], v[63:64], off offset:800
	global_load_dwordx4 v[7:10], v[63:64], off offset:816
	;; [unrolled: 1-line block ×15, first 2 shown]
	ds_read_b128 v[63:66], v72
	ds_read_b128 v[67:70], v104
	ds_read_b128 v[73:76], v106 offset:3840
	ds_read_b128 v[87:90], v106 offset:5760
	;; [unrolled: 1-line block ×8, first 2 shown]
	s_mov_b32 s4, 0x667f3bcd
	s_mov_b32 s5, 0xbfe6a09e
	;; [unrolled: 1-line block ×12, first 2 shown]
	v_cmp_lt_u32_e32 vcc, 59, v82
	s_waitcnt vmcnt(14) lgkmcnt(9)
	v_mul_f64 v[77:78], v[65:66], v[5:6]
	v_mul_f64 v[5:6], v[63:64], v[5:6]
	s_waitcnt vmcnt(13) lgkmcnt(7)
	v_mul_f64 v[119:120], v[75:76], v[9:10]
	s_waitcnt vmcnt(12) lgkmcnt(6)
	v_mul_f64 v[121:122], v[89:90], v[13:14]
	v_mul_f64 v[9:10], v[73:74], v[9:10]
	;; [unrolled: 1-line block ×3, first 2 shown]
	v_fma_f64 v[63:64], v[63:64], v[3:4], -v[77:78]
	s_waitcnt vmcnt(11) lgkmcnt(5)
	v_mul_f64 v[77:78], v[93:94], v[17:18]
	v_mul_f64 v[17:18], v[91:92], v[17:18]
	v_fma_f64 v[73:74], v[73:74], v[7:8], -v[119:120]
	s_waitcnt vmcnt(10) lgkmcnt(3)
	v_mul_f64 v[119:120], v[101:102], v[21:22]
	v_fma_f64 v[87:88], v[87:88], v[11:12], -v[121:122]
	s_waitcnt vmcnt(9) lgkmcnt(2)
	v_mul_f64 v[121:122], v[109:110], v[25:26]
	v_mul_f64 v[21:22], v[99:100], v[21:22]
	;; [unrolled: 1-line block ×3, first 2 shown]
	v_fma_f64 v[77:78], v[91:92], v[15:16], -v[77:78]
	v_fma_f64 v[91:92], v[93:94], v[15:16], v[17:18]
	s_waitcnt vmcnt(8) lgkmcnt(1)
	v_mul_f64 v[93:94], v[113:114], v[29:30]
	v_mul_f64 v[29:30], v[111:112], v[29:30]
	v_fma_f64 v[65:66], v[65:66], v[3:4], v[5:6]
	v_fma_f64 v[75:76], v[75:76], v[7:8], v[9:10]
	ds_read_b128 v[3:6], v106 offset:17280
	ds_read_b128 v[7:10], v106 offset:19200
	v_fma_f64 v[99:100], v[99:100], v[19:20], -v[119:120]
	s_waitcnt vmcnt(7) lgkmcnt(2)
	v_mul_f64 v[119:120], v[117:118], v[33:34]
	v_mul_f64 v[33:34], v[115:116], v[33:34]
	v_fma_f64 v[93:94], v[111:112], v[27:28], -v[93:94]
	v_fma_f64 v[27:28], v[113:114], v[27:28], v[29:30]
	s_waitcnt vmcnt(6) lgkmcnt(1)
	v_mul_f64 v[29:30], v[3:4], v[37:38]
	v_fma_f64 v[107:108], v[107:108], v[23:24], -v[121:122]
	v_mul_f64 v[121:122], v[5:6], v[37:38]
	v_fma_f64 v[89:90], v[89:90], v[11:12], v[13:14]
	ds_read_b128 v[11:14], v106 offset:21120
	ds_read_b128 v[15:18], v106 offset:23040
	v_fma_f64 v[101:102], v[101:102], v[19:20], v[21:22]
	v_fma_f64 v[109:110], v[109:110], v[23:24], v[25:26]
	ds_read_b128 v[19:22], v106 offset:24960
	ds_read_b128 v[23:26], v106 offset:26880
	s_waitcnt vmcnt(5) lgkmcnt(4)
	v_mul_f64 v[37:38], v[9:10], v[41:42]
	v_mul_f64 v[41:42], v[7:8], v[41:42]
	s_waitcnt vmcnt(4) lgkmcnt(3)
	v_mul_f64 v[111:112], v[13:14], v[45:46]
	v_fma_f64 v[113:114], v[115:116], v[31:32], -v[119:120]
	v_fma_f64 v[31:32], v[117:118], v[31:32], v[33:34]
	v_mul_f64 v[33:34], v[11:12], v[45:46]
	s_waitcnt vmcnt(3) lgkmcnt(2)
	v_mul_f64 v[45:46], v[17:18], v[49:50]
	v_mul_f64 v[49:50], v[15:16], v[49:50]
	s_waitcnt vmcnt(2) lgkmcnt(1)
	v_mul_f64 v[115:116], v[21:22], v[53:54]
	v_fma_f64 v[5:6], v[5:6], v[35:36], v[29:30]
	v_mul_f64 v[29:30], v[19:20], v[53:54]
	s_waitcnt vmcnt(1) lgkmcnt(0)
	v_mul_f64 v[53:54], v[23:24], v[57:58]
	v_fma_f64 v[3:4], v[3:4], v[35:36], -v[121:122]
	v_mul_f64 v[35:36], v[25:26], v[57:58]
	v_fma_f64 v[9:10], v[9:10], v[39:40], v[41:42]
	v_fma_f64 v[17:18], v[17:18], v[47:48], v[49:50]
	v_fma_f64 v[7:8], v[7:8], v[39:40], -v[37:38]
	v_fma_f64 v[15:16], v[15:16], v[47:48], -v[45:46]
	v_add_f64 v[31:32], v[69:70], -v[31:32]
	v_fma_f64 v[25:26], v[25:26], v[55:56], v[53:54]
	v_fma_f64 v[13:14], v[13:14], v[43:44], v[33:34]
	v_fma_f64 v[23:24], v[23:24], v[55:56], -v[35:36]
	v_add_f64 v[9:10], v[75:76], -v[9:10]
	v_add_f64 v[17:18], v[91:92], -v[17:18]
	s_waitcnt vmcnt(0)
	v_mul_f64 v[33:34], v[97:98], v[61:62]
	v_mul_f64 v[37:38], v[95:96], v[61:62]
	v_add_f64 v[35:36], v[67:68], -v[113:114]
	v_add_f64 v[25:26], v[109:110], -v[25:26]
	v_add_f64 v[15:16], v[77:78], -v[15:16]
	v_add_f64 v[7:8], v[73:74], -v[7:8]
	v_add_f64 v[23:24], v[107:108], -v[23:24]
	v_fma_f64 v[11:12], v[11:12], v[43:44], -v[111:112]
	v_fma_f64 v[19:20], v[19:20], v[51:52], -v[115:116]
	v_fma_f64 v[21:22], v[21:22], v[51:52], v[29:30]
	v_fma_f64 v[39:40], v[69:70], 2.0, -v[31:32]
	v_fma_f64 v[43:44], v[91:92], 2.0, -v[17:18]
	;; [unrolled: 1-line block ×4, first 2 shown]
	v_fma_f64 v[29:30], v[95:96], v[59:60], -v[33:34]
	v_fma_f64 v[33:34], v[97:98], v[59:60], v[37:38]
	v_fma_f64 v[37:38], v[67:68], 2.0, -v[35:36]
	v_fma_f64 v[41:42], v[77:78], 2.0, -v[15:16]
	;; [unrolled: 1-line block ×4, first 2 shown]
	v_add_f64 v[43:44], v[39:40], -v[43:44]
	v_add_f64 v[17:18], v[35:36], -v[17:18]
	;; [unrolled: 1-line block ×4, first 2 shown]
	v_add_f64 v[15:16], v[31:32], v[15:16]
	v_add_f64 v[41:42], v[37:38], -v[41:42]
	v_add_f64 v[23:24], v[9:10], v[23:24]
	v_add_f64 v[49:50], v[45:46], -v[49:50]
	v_add_f64 v[3:4], v[63:64], -v[3:4]
	;; [unrolled: 1-line block ×9, first 2 shown]
	v_fma_f64 v[39:40], v[39:40], 2.0, -v[43:44]
	v_fma_f64 v[35:36], v[35:36], 2.0, -v[17:18]
	;; [unrolled: 1-line block ×16, first 2 shown]
	v_add_f64 v[21:22], v[3:4], -v[21:22]
	v_add_f64 v[19:20], v[5:6], v[19:20]
	v_add_f64 v[33:34], v[11:12], -v[33:34]
	v_add_f64 v[29:30], v[13:14], v[29:30]
	v_fma_f64 v[67:68], v[7:8], s[4:5], v[35:36]
	v_add_f64 v[75:76], v[39:40], -v[47:48]
	v_fma_f64 v[47:48], v[23:24], s[6:7], v[15:16]
	v_fma_f64 v[69:70], v[9:10], s[4:5], v[31:32]
	v_add_f64 v[73:74], v[37:38], -v[45:46]
	v_fma_f64 v[45:46], v[25:26], s[6:7], v[17:18]
	v_add_f64 v[57:58], v[53:54], -v[57:58]
	v_add_f64 v[59:60], v[55:56], -v[59:60]
	;; [unrolled: 1-line block ×4, first 2 shown]
	v_fma_f64 v[3:4], v[3:4], 2.0, -v[21:22]
	v_fma_f64 v[5:6], v[5:6], 2.0, -v[19:20]
	;; [unrolled: 1-line block ×4, first 2 shown]
	v_fma_f64 v[67:68], v[9:10], s[4:5], v[67:68]
	v_add_f64 v[87:88], v[43:44], v[49:50]
	v_fma_f64 v[91:92], v[25:26], s[6:7], v[47:48]
	v_fma_f64 v[69:70], v[7:8], s[6:7], v[69:70]
	v_add_f64 v[77:78], v[41:42], -v[51:52]
	v_fma_f64 v[89:90], v[23:24], s[4:5], v[45:46]
	v_fma_f64 v[53:54], v[53:54], 2.0, -v[57:58]
	v_fma_f64 v[55:56], v[55:56], 2.0, -v[59:60]
	;; [unrolled: 1-line block ×6, first 2 shown]
	v_fma_f64 v[7:8], v[11:12], s[4:5], v[3:4]
	v_fma_f64 v[9:10], v[13:14], s[4:5], v[5:6]
	v_fma_f64 v[43:44], v[15:16], 2.0, -v[91:92]
	v_fma_f64 v[15:16], v[33:34], s[6:7], v[21:22]
	v_fma_f64 v[25:26], v[31:32], 2.0, -v[69:70]
	v_fma_f64 v[31:32], v[41:42], 2.0, -v[77:78]
	;; [unrolled: 1-line block ×3, first 2 shown]
	v_fma_f64 v[17:18], v[29:30], s[6:7], v[19:20]
	v_add_f64 v[45:46], v[53:54], -v[61:62]
	v_add_f64 v[47:48], v[55:56], -v[63:64]
	v_fma_f64 v[49:50], v[13:14], s[4:5], v[7:8]
	v_fma_f64 v[51:52], v[11:12], s[6:7], v[9:10]
	v_add_f64 v[61:62], v[57:58], -v[27:28]
	v_add_f64 v[63:64], v[59:60], v[65:66]
	v_fma_f64 v[65:66], v[29:30], s[4:5], v[15:16]
	v_fma_f64 v[93:94], v[33:34], s[6:7], v[17:18]
	v_fma_f64 v[37:38], v[37:38], 2.0, -v[73:74]
	v_fma_f64 v[39:40], v[39:40], 2.0, -v[75:76]
	;; [unrolled: 1-line block ×10, first 2 shown]
	v_add_f64 v[3:4], v[37:38], -v[7:8]
	v_add_f64 v[5:6], v[39:40], -v[9:10]
	v_fma_f64 v[7:8], v[11:12], s[8:9], v[23:24]
	v_fma_f64 v[9:10], v[13:14], s[8:9], v[25:26]
	;; [unrolled: 1-line block ×14, first 2 shown]
	v_fma_f64 v[21:22], v[39:40], 2.0, -v[5:6]
	v_fma_f64 v[39:40], v[49:50], s[16:17], v[67:68]
	v_fma_f64 v[53:54], v[63:64], s[6:7], v[87:88]
	v_fma_f64 v[19:20], v[37:38], 2.0, -v[3:4]
	v_fma_f64 v[27:28], v[31:32], 2.0, -v[11:12]
	;; [unrolled: 1-line block ×4, first 2 shown]
	v_fma_f64 v[41:42], v[51:52], s[16:17], v[69:70]
	v_fma_f64 v[33:34], v[43:44], 2.0, -v[17:18]
	v_fma_f64 v[43:44], v[61:62], s[6:7], v[77:78]
	v_fma_f64 v[39:40], v[51:52], s[8:9], v[39:40]
	v_add_f64 v[35:36], v[73:74], -v[47:48]
	v_add_f64 v[37:38], v[75:76], v[45:46]
	v_fma_f64 v[45:46], v[61:62], s[6:7], v[53:54]
	v_fma_f64 v[47:48], v[93:94], s[14:15], v[55:56]
	;; [unrolled: 1-line block ×5, first 2 shown]
	v_fma_f64 v[23:24], v[23:24], 2.0, -v[7:8]
	v_fma_f64 v[25:26], v[25:26], 2.0, -v[9:10]
	v_fma_f64 v[55:56], v[67:68], 2.0, -v[39:40]
	v_mov_b32_e32 v67, 0x3c0
	v_fma_f64 v[51:52], v[73:74], 2.0, -v[35:36]
	v_fma_f64 v[53:54], v[75:76], 2.0, -v[37:38]
	v_cndmask_b32_e32 v67, 0, v67, vcc
	v_fma_f64 v[57:58], v[69:70], 2.0, -v[41:42]
	v_or_b32_e32 v2, v67, v2
	v_fma_f64 v[59:60], v[77:78], 2.0, -v[43:44]
	v_fma_f64 v[61:62], v[87:88], 2.0, -v[45:46]
	v_lshlrev_b32_e32 v2, 4, v2
	v_fma_f64 v[63:64], v[89:90], 2.0, -v[47:48]
	v_fma_f64 v[65:66], v[91:92], 2.0, -v[49:50]
	v_add3_u32 v2, 0, v2, v83
	v_mov_b32_e32 v83, v1
	s_barrier
	ds_write_b128 v2, v[19:22]
	ds_write_b128 v2, v[23:26] offset:960
	ds_write_b128 v2, v[27:30] offset:1920
	;; [unrolled: 1-line block ×15, first 2 shown]
	v_lshlrev_b64 v[8:9], 4, v[82:83]
	s_movk_i32 s4, 0x3000
	v_add_co_u32_e32 v6, vcc, s12, v8
	v_addc_co_u32_e32 v7, vcc, v0, v9, vcc
	v_mov_b32_e32 v87, v1
	v_add_co_u32_e32 v2, vcc, s4, v6
	v_lshlrev_b64 v[10:11], 4, v[86:87]
	v_addc_co_u32_e32 v3, vcc, 0, v7, vcc
	v_add_co_u32_e32 v1, vcc, s12, v10
	v_addc_co_u32_e32 v12, vcc, v0, v11, vcc
	s_waitcnt lgkmcnt(0)
	s_barrier
	global_load_dwordx4 v[2:5], v[2:3], off offset:2912
	v_add_co_u32_e32 v0, vcc, s4, v1
	v_addc_co_u32_e32 v1, vcc, 0, v12, vcc
	s_movk_i32 s4, 0x4000
	global_load_dwordx4 v[12:15], v[0:1], off offset:2912
	v_add_co_u32_e32 v0, vcc, s4, v6
	v_addc_co_u32_e32 v1, vcc, 0, v7, vcc
	global_load_dwordx4 v[16:19], v[0:1], off offset:2656
	s_movk_i32 s4, 0x5000
	v_add_co_u32_e32 v0, vcc, s4, v6
	v_addc_co_u32_e32 v1, vcc, 0, v7, vcc
	global_load_dwordx4 v[20:23], v[0:1], off offset:480
	global_load_dwordx4 v[24:27], v[0:1], off offset:2400
	s_movk_i32 s4, 0x6000
	v_add_co_u32_e32 v0, vcc, s4, v6
	v_addc_co_u32_e32 v1, vcc, 0, v7, vcc
	global_load_dwordx4 v[28:31], v[0:1], off offset:224
	global_load_dwordx4 v[32:35], v[0:1], off offset:2144
	;; [unrolled: 1-line block ×3, first 2 shown]
	ds_read_b128 v[40:43], v106 offset:15360
	ds_read_b128 v[44:47], v104
	ds_read_b128 v[48:51], v106 offset:3840
	ds_read_b128 v[52:55], v106 offset:17280
	;; [unrolled: 1-line block ×6, first 2 shown]
	s_add_u32 s6, s12, 0x7760
	s_addc_u32 s7, s13, 0
	v_cmp_ne_u32_e32 vcc, 0, v82
	s_waitcnt vmcnt(7) lgkmcnt(7)
	v_mul_f64 v[0:1], v[42:43], v[4:5]
	v_mul_f64 v[77:78], v[40:41], v[4:5]
	ds_read_b128 v[4:7], v106 offset:21120
	ds_read_b128 v[73:76], v106 offset:23040
	ds_read_b128 v[87:90], v106 offset:9600
	ds_read_b128 v[91:94], v106 offset:11520
	ds_read_b128 v[95:98], v106 offset:24960
	ds_read_b128 v[99:102], v106 offset:26880
	s_waitcnt vmcnt(6) lgkmcnt(10)
	v_mul_f64 v[109:110], v[54:55], v[14:15]
	v_mul_f64 v[14:15], v[52:53], v[14:15]
	v_fma_f64 v[107:108], v[40:41], v[2:3], -v[0:1]
	v_fma_f64 v[77:78], v[42:43], v[2:3], v[77:78]
	ds_read_b128 v[0:3], v72
	ds_read_b128 v[40:43], v106 offset:28800
	s_waitcnt vmcnt(5) lgkmcnt(11)
	v_mul_f64 v[111:112], v[58:59], v[18:19]
	v_mul_f64 v[18:19], v[56:57], v[18:19]
	s_waitcnt lgkmcnt(0)
	v_fma_f64 v[52:53], v[52:53], v[12:13], -v[109:110]
	v_fma_f64 v[14:15], v[54:55], v[12:13], v[14:15]
	s_waitcnt vmcnt(4)
	v_mul_f64 v[113:114], v[6:7], v[22:23]
	v_mul_f64 v[22:23], v[4:5], v[22:23]
	s_waitcnt vmcnt(0)
	s_barrier
	v_fma_f64 v[54:55], v[56:57], v[16:17], -v[111:112]
	v_fma_f64 v[18:19], v[58:59], v[16:17], v[18:19]
	v_mul_f64 v[12:13], v[97:98], v[30:31]
	v_mul_f64 v[16:17], v[95:96], v[30:31]
	;; [unrolled: 1-line block ×3, first 2 shown]
	v_fma_f64 v[56:57], v[4:5], v[20:21], -v[113:114]
	v_fma_f64 v[22:23], v[6:7], v[20:21], v[22:23]
	v_mul_f64 v[4:5], v[75:76], v[26:27]
	v_mul_f64 v[6:7], v[73:74], v[26:27]
	;; [unrolled: 1-line block ×5, first 2 shown]
	v_add_f64 v[18:19], v[50:51], -v[18:19]
	v_add_f64 v[14:15], v[2:3], -v[14:15]
	;; [unrolled: 1-line block ×3, first 2 shown]
	v_fma_f64 v[38:39], v[73:74], v[24:25], -v[4:5]
	v_fma_f64 v[58:59], v[75:76], v[24:25], v[6:7]
	v_fma_f64 v[73:74], v[95:96], v[28:29], -v[12:13]
	v_fma_f64 v[75:76], v[97:98], v[28:29], v[16:17]
	;; [unrolled: 2-line block ×4, first 2 shown]
	v_add_f64 v[4:5], v[44:45], -v[107:108]
	v_add_f64 v[6:7], v[46:47], -v[77:78]
	;; [unrolled: 1-line block ×5, first 2 shown]
	v_fma_f64 v[30:31], v[50:51], 2.0, -v[18:19]
	v_add_f64 v[36:37], v[64:65], -v[38:39]
	v_add_f64 v[38:39], v[66:67], -v[58:59]
	v_fma_f64 v[24:25], v[44:45], 2.0, -v[4:5]
	v_fma_f64 v[26:27], v[46:47], 2.0, -v[6:7]
	;; [unrolled: 1-line block ×3, first 2 shown]
	v_add_f64 v[40:41], v[87:88], -v[73:74]
	v_add_f64 v[42:43], v[89:90], -v[75:76]
	;; [unrolled: 1-line block ×6, first 2 shown]
	v_fma_f64 v[0:1], v[0:1], 2.0, -v[12:13]
	v_fma_f64 v[2:3], v[2:3], 2.0, -v[14:15]
	;; [unrolled: 1-line block ×12, first 2 shown]
	ds_write_b128 v106, v[24:27]
	ds_write_b128 v106, v[4:7] offset:15360
	ds_write_b128 v72, v[0:3]
	ds_write_b128 v72, v[12:15] offset:15360
	ds_write_b128 v106, v[28:31] offset:3840
	ds_write_b128 v106, v[16:19] offset:19200
	ds_write_b128 v106, v[32:35] offset:5760
	ds_write_b128 v106, v[20:23] offset:21120
	ds_write_b128 v106, v[52:55] offset:7680
	ds_write_b128 v106, v[36:39] offset:23040
	ds_write_b128 v106, v[56:59] offset:9600
	ds_write_b128 v106, v[40:43] offset:24960
	ds_write_b128 v106, v[60:63] offset:11520
	ds_write_b128 v106, v[44:47] offset:26880
	ds_write_b128 v106, v[64:67] offset:13440
	ds_write_b128 v106, v[48:51] offset:28800
	s_waitcnt lgkmcnt(0)
	s_barrier
	ds_read_b128 v[4:7], v104
	v_sub_u32_e32 v16, v103, v105
                                        ; implicit-def: $vgpr0_vgpr1
                                        ; implicit-def: $vgpr12_vgpr13
                                        ; implicit-def: $vgpr14_vgpr15
	s_and_saveexec_b64 s[4:5], vcc
	s_xor_b64 s[4:5], exec, s[4:5]
	s_cbranch_execz .LBB0_21
; %bb.20:
	v_mov_b32_e32 v1, s7
	v_add_co_u32_e32 v0, vcc, s6, v8
	v_addc_co_u32_e32 v1, vcc, v1, v9, vcc
	global_load_dwordx4 v[17:20], v[0:1], off
	ds_read_b128 v[0:3], v16 offset:30720
	s_waitcnt lgkmcnt(0)
	v_add_f64 v[12:13], v[4:5], -v[0:1]
	v_add_f64 v[14:15], v[6:7], v[2:3]
	v_add_f64 v[2:3], v[6:7], -v[2:3]
	v_add_f64 v[0:1], v[4:5], v[0:1]
	v_mul_f64 v[6:7], v[12:13], 0.5
	v_mul_f64 v[4:5], v[14:15], 0.5
	;; [unrolled: 1-line block ×3, first 2 shown]
	s_waitcnt vmcnt(0)
	v_mul_f64 v[12:13], v[6:7], v[19:20]
	v_fma_f64 v[14:15], v[4:5], v[19:20], v[2:3]
	v_fma_f64 v[2:3], v[4:5], v[19:20], -v[2:3]
	v_fma_f64 v[21:22], v[0:1], 0.5, v[12:13]
	v_fma_f64 v[0:1], v[0:1], 0.5, -v[12:13]
	v_fma_f64 v[14:15], -v[17:18], v[6:7], v[14:15]
	v_fma_f64 v[2:3], -v[17:18], v[6:7], v[2:3]
	v_fma_f64 v[12:13], v[4:5], v[17:18], v[21:22]
	v_fma_f64 v[0:1], -v[4:5], v[17:18], v[0:1]
                                        ; implicit-def: $vgpr4_vgpr5
.LBB0_21:
	s_andn2_saveexec_b64 s[4:5], s[4:5]
	s_cbranch_execz .LBB0_23
; %bb.22:
	s_waitcnt lgkmcnt(0)
	v_add_f64 v[12:13], v[4:5], v[6:7]
	ds_read_b64 v[2:3], v103 offset:15368
	v_add_f64 v[0:1], v[4:5], -v[6:7]
	v_mov_b32_e32 v14, 0
	v_mov_b32_e32 v15, 0
	s_waitcnt lgkmcnt(0)
	v_xor_b32_e32 v3, 0x80000000, v3
	ds_write_b64 v103, v[2:3] offset:15368
	v_mov_b32_e32 v2, v14
	v_mov_b32_e32 v3, v15
.LBB0_23:
	s_or_b64 exec, exec, s[4:5]
	s_waitcnt lgkmcnt(0)
	v_mov_b32_e32 v5, s7
	v_add_co_u32_e32 v4, vcc, s6, v10
	v_addc_co_u32_e32 v5, vcc, v5, v11, vcc
	global_load_dwordx4 v[4:7], v[4:5], off
	v_mov_b32_e32 v10, s7
	v_add_co_u32_e32 v17, vcc, s6, v8
	v_addc_co_u32_e32 v18, vcc, v10, v9, vcc
	global_load_dwordx4 v[8:11], v[17:18], off offset:3840
	ds_write2_b64 v104, v[12:13], v[14:15] offset1:1
	ds_write_b128 v16, v[0:3] offset:30720
	v_lshl_add_u32 v27, v86, 4, v103
	ds_read_b128 v[0:3], v27
	ds_read_b128 v[12:15], v16 offset:28800
	s_movk_i32 s4, 0x1000
	v_add_co_u32_e32 v25, vcc, s4, v17
	v_addc_co_u32_e32 v26, vcc, 0, v18, vcc
	s_waitcnt lgkmcnt(0)
	v_add_f64 v[19:20], v[0:1], -v[12:13]
	v_add_f64 v[21:22], v[2:3], v[14:15]
	v_add_f64 v[2:3], v[2:3], -v[14:15]
	v_add_f64 v[0:1], v[0:1], v[12:13]
	s_movk_i32 s4, 0x2000
	v_mul_f64 v[14:15], v[19:20], 0.5
	v_mul_f64 v[19:20], v[21:22], 0.5
	;; [unrolled: 1-line block ×3, first 2 shown]
	s_waitcnt vmcnt(1)
	v_mul_f64 v[12:13], v[14:15], v[6:7]
	v_fma_f64 v[21:22], v[19:20], v[6:7], v[2:3]
	v_fma_f64 v[6:7], v[19:20], v[6:7], -v[2:3]
	v_fma_f64 v[23:24], v[0:1], 0.5, v[12:13]
	v_fma_f64 v[12:13], v[0:1], 0.5, -v[12:13]
	global_load_dwordx4 v[0:3], v[25:26], off offset:1664
	v_fma_f64 v[21:22], -v[4:5], v[14:15], v[21:22]
	v_fma_f64 v[6:7], -v[4:5], v[14:15], v[6:7]
	v_fma_f64 v[14:15], v[19:20], v[4:5], v[23:24]
	v_fma_f64 v[4:5], -v[19:20], v[4:5], v[12:13]
	ds_write2_b64 v27, v[14:15], v[21:22] offset1:1
	ds_write_b128 v16, v[4:7] offset:28800
	ds_read_b128 v[4:7], v104 offset:3840
	ds_read_b128 v[12:15], v16 offset:26880
	s_waitcnt lgkmcnt(0)
	v_add_f64 v[19:20], v[4:5], -v[12:13]
	v_add_f64 v[21:22], v[6:7], v[14:15]
	v_add_f64 v[6:7], v[6:7], -v[14:15]
	v_add_f64 v[4:5], v[4:5], v[12:13]
	v_mul_f64 v[14:15], v[19:20], 0.5
	v_mul_f64 v[19:20], v[21:22], 0.5
	;; [unrolled: 1-line block ×3, first 2 shown]
	s_waitcnt vmcnt(1)
	v_mul_f64 v[12:13], v[14:15], v[10:11]
	v_fma_f64 v[21:22], v[19:20], v[10:11], v[6:7]
	v_fma_f64 v[10:11], v[19:20], v[10:11], -v[6:7]
	v_fma_f64 v[23:24], v[4:5], 0.5, v[12:13]
	v_fma_f64 v[12:13], v[4:5], 0.5, -v[12:13]
	global_load_dwordx4 v[4:7], v[25:26], off offset:3584
	v_fma_f64 v[21:22], -v[8:9], v[14:15], v[21:22]
	v_fma_f64 v[10:11], -v[8:9], v[14:15], v[10:11]
	v_add_co_u32_e32 v25, vcc, s4, v17
	v_addc_co_u32_e32 v26, vcc, 0, v18, vcc
	v_fma_f64 v[14:15], v[19:20], v[8:9], v[23:24]
	v_fma_f64 v[8:9], -v[19:20], v[8:9], v[12:13]
	v_add_u32_e32 v12, 0x800, v104
	s_movk_i32 s4, 0x3000
	ds_write2_b64 v12, v[14:15], v[21:22] offset0:224 offset1:225
	ds_write_b128 v16, v[8:11] offset:26880
	ds_read_b128 v[8:11], v104 offset:5760
	ds_read_b128 v[12:15], v16 offset:24960
	s_waitcnt lgkmcnt(0)
	v_add_f64 v[19:20], v[8:9], -v[12:13]
	v_add_f64 v[21:22], v[10:11], v[14:15]
	v_add_f64 v[10:11], v[10:11], -v[14:15]
	v_add_f64 v[8:9], v[8:9], v[12:13]
	v_mul_f64 v[14:15], v[19:20], 0.5
	v_mul_f64 v[19:20], v[21:22], 0.5
	;; [unrolled: 1-line block ×3, first 2 shown]
	s_waitcnt vmcnt(1)
	v_mul_f64 v[12:13], v[14:15], v[2:3]
	v_fma_f64 v[21:22], v[19:20], v[2:3], v[10:11]
	v_fma_f64 v[2:3], v[19:20], v[2:3], -v[10:11]
	v_fma_f64 v[23:24], v[8:9], 0.5, v[12:13]
	v_fma_f64 v[12:13], v[8:9], 0.5, -v[12:13]
	global_load_dwordx4 v[8:11], v[25:26], off offset:1408
	v_fma_f64 v[21:22], -v[0:1], v[14:15], v[21:22]
	v_fma_f64 v[2:3], -v[0:1], v[14:15], v[2:3]
	v_fma_f64 v[14:15], v[19:20], v[0:1], v[23:24]
	v_fma_f64 v[0:1], -v[19:20], v[0:1], v[12:13]
	v_add_u32_e32 v12, 0x1000, v104
	ds_write2_b64 v12, v[14:15], v[21:22] offset0:208 offset1:209
	ds_write_b128 v16, v[0:3] offset:24960
	ds_read_b128 v[0:3], v104 offset:7680
	ds_read_b128 v[12:15], v16 offset:23040
	s_waitcnt lgkmcnt(0)
	v_add_f64 v[19:20], v[0:1], -v[12:13]
	v_add_f64 v[21:22], v[2:3], v[14:15]
	v_add_f64 v[2:3], v[2:3], -v[14:15]
	v_add_f64 v[0:1], v[0:1], v[12:13]
	v_mul_f64 v[14:15], v[19:20], 0.5
	v_mul_f64 v[19:20], v[21:22], 0.5
	;; [unrolled: 1-line block ×3, first 2 shown]
	s_waitcnt vmcnt(1)
	v_mul_f64 v[12:13], v[14:15], v[6:7]
	v_fma_f64 v[21:22], v[19:20], v[6:7], v[2:3]
	v_fma_f64 v[6:7], v[19:20], v[6:7], -v[2:3]
	v_fma_f64 v[23:24], v[0:1], 0.5, v[12:13]
	v_fma_f64 v[12:13], v[0:1], 0.5, -v[12:13]
	global_load_dwordx4 v[0:3], v[25:26], off offset:3328
	v_fma_f64 v[21:22], -v[4:5], v[14:15], v[21:22]
	v_fma_f64 v[6:7], -v[4:5], v[14:15], v[6:7]
	v_fma_f64 v[14:15], v[19:20], v[4:5], v[23:24]
	v_fma_f64 v[4:5], -v[19:20], v[4:5], v[12:13]
	v_add_u32_e32 v12, 0x1800, v104
	ds_write2_b64 v12, v[14:15], v[21:22] offset0:192 offset1:193
	ds_write_b128 v16, v[4:7] offset:23040
	ds_read_b128 v[4:7], v104 offset:9600
	ds_read_b128 v[12:15], v16 offset:21120
	s_waitcnt lgkmcnt(0)
	v_add_f64 v[19:20], v[4:5], -v[12:13]
	v_add_f64 v[21:22], v[6:7], v[14:15]
	v_add_f64 v[6:7], v[6:7], -v[14:15]
	v_add_f64 v[4:5], v[4:5], v[12:13]
	v_mul_f64 v[14:15], v[19:20], 0.5
	v_mul_f64 v[19:20], v[21:22], 0.5
	;; [unrolled: 1-line block ×3, first 2 shown]
	s_waitcnt vmcnt(1)
	v_mul_f64 v[12:13], v[14:15], v[10:11]
	v_fma_f64 v[21:22], v[19:20], v[10:11], v[6:7]
	v_fma_f64 v[10:11], v[19:20], v[10:11], -v[6:7]
	v_fma_f64 v[23:24], v[4:5], 0.5, v[12:13]
	v_fma_f64 v[12:13], v[4:5], 0.5, -v[12:13]
	v_add_co_u32_e32 v4, vcc, s4, v17
	v_addc_co_u32_e32 v5, vcc, 0, v18, vcc
	global_load_dwordx4 v[4:7], v[4:5], off offset:1152
	v_fma_f64 v[17:18], -v[8:9], v[14:15], v[21:22]
	v_fma_f64 v[10:11], -v[8:9], v[14:15], v[10:11]
	v_fma_f64 v[14:15], v[19:20], v[8:9], v[23:24]
	v_fma_f64 v[8:9], -v[19:20], v[8:9], v[12:13]
	v_add_u32_e32 v12, 0x2000, v104
	ds_write2_b64 v12, v[14:15], v[17:18] offset0:176 offset1:177
	ds_write_b128 v16, v[8:11] offset:21120
	ds_read_b128 v[8:11], v104 offset:11520
	ds_read_b128 v[12:15], v16 offset:19200
	s_waitcnt lgkmcnt(0)
	v_add_f64 v[17:18], v[8:9], -v[12:13]
	v_add_f64 v[19:20], v[10:11], v[14:15]
	v_add_f64 v[10:11], v[10:11], -v[14:15]
	v_add_f64 v[8:9], v[8:9], v[12:13]
	v_mul_f64 v[14:15], v[17:18], 0.5
	v_mul_f64 v[17:18], v[19:20], 0.5
	;; [unrolled: 1-line block ×3, first 2 shown]
	s_waitcnt vmcnt(1)
	v_mul_f64 v[12:13], v[14:15], v[2:3]
	v_fma_f64 v[19:20], v[17:18], v[2:3], v[10:11]
	v_fma_f64 v[2:3], v[17:18], v[2:3], -v[10:11]
	v_fma_f64 v[10:11], v[8:9], 0.5, v[12:13]
	v_fma_f64 v[8:9], v[8:9], 0.5, -v[12:13]
	v_fma_f64 v[12:13], -v[0:1], v[14:15], v[19:20]
	v_fma_f64 v[2:3], -v[0:1], v[14:15], v[2:3]
	v_fma_f64 v[10:11], v[17:18], v[0:1], v[10:11]
	v_fma_f64 v[0:1], -v[17:18], v[0:1], v[8:9]
	v_add_u32_e32 v8, 0x2800, v104
	ds_write2_b64 v8, v[10:11], v[12:13] offset0:160 offset1:161
	ds_write_b128 v16, v[0:3] offset:19200
	ds_read_b128 v[0:3], v104 offset:13440
	ds_read_b128 v[8:11], v16 offset:17280
	s_waitcnt lgkmcnt(0)
	v_add_f64 v[12:13], v[0:1], -v[8:9]
	v_add_f64 v[14:15], v[2:3], v[10:11]
	v_add_f64 v[2:3], v[2:3], -v[10:11]
	v_add_f64 v[0:1], v[0:1], v[8:9]
	v_mul_f64 v[10:11], v[12:13], 0.5
	v_mul_f64 v[12:13], v[14:15], 0.5
	;; [unrolled: 1-line block ×3, first 2 shown]
	s_waitcnt vmcnt(0)
	v_mul_f64 v[8:9], v[10:11], v[6:7]
	v_fma_f64 v[14:15], v[12:13], v[6:7], v[2:3]
	v_fma_f64 v[2:3], v[12:13], v[6:7], -v[2:3]
	v_fma_f64 v[6:7], v[0:1], 0.5, v[8:9]
	v_fma_f64 v[0:1], v[0:1], 0.5, -v[8:9]
	v_fma_f64 v[8:9], -v[4:5], v[10:11], v[14:15]
	v_fma_f64 v[2:3], -v[4:5], v[10:11], v[2:3]
	v_fma_f64 v[6:7], v[12:13], v[4:5], v[6:7]
	v_fma_f64 v[0:1], -v[12:13], v[4:5], v[0:1]
	v_add_u32_e32 v4, 0x3000, v104
	ds_write2_b64 v4, v[6:7], v[8:9] offset0:144 offset1:145
	ds_write_b128 v16, v[0:3] offset:17280
	s_waitcnt lgkmcnt(0)
	s_barrier
	s_and_saveexec_b64 s[4:5], s[0:1]
	s_cbranch_execz .LBB0_26
; %bb.24:
	v_mul_lo_u32 v0, s3, v84
	v_mul_lo_u32 v3, s2, v85
	v_mad_u64_u32 v[1:2], s[0:1], s2, v84, 0
	v_mov_b32_e32 v7, s11
	v_mov_b32_e32 v83, 0
	v_add3_u32 v2, v2, v3, v0
	v_lshlrev_b64 v[1:2], 4, v[1:2]
	v_lshl_add_u32 v0, v82, 4, v103
	v_add_co_u32_e32 v1, vcc, s10, v1
	v_addc_co_u32_e32 v9, vcc, v7, v2, vcc
	v_lshlrev_b64 v[7:8], 4, v[80:81]
	ds_read_b128 v[3:6], v0
	v_add_co_u32_e32 v2, vcc, v1, v7
	v_addc_co_u32_e32 v1, vcc, v9, v8, vcc
	v_lshlrev_b64 v[7:8], 4, v[82:83]
	s_movk_i32 s0, 0x77
	v_add_co_u32_e32 v11, vcc, v2, v7
	v_addc_co_u32_e32 v12, vcc, v1, v8, vcc
	ds_read_b128 v[7:10], v0 offset:1920
	s_waitcnt lgkmcnt(1)
	global_store_dwordx4 v[11:12], v[3:6], off
	s_nop 0
	v_add_u32_e32 v3, 0x78, v82
	v_mov_b32_e32 v4, v83
	v_lshlrev_b64 v[3:4], 4, v[3:4]
	v_add_co_u32_e32 v3, vcc, v2, v3
	v_addc_co_u32_e32 v4, vcc, v1, v4, vcc
	s_waitcnt lgkmcnt(0)
	global_store_dwordx4 v[3:4], v[7:10], off
	ds_read_b128 v[3:6], v0 offset:3840
	v_add_u32_e32 v7, 0xf0, v82
	v_mov_b32_e32 v8, v83
	v_lshlrev_b64 v[7:8], 4, v[7:8]
	v_add_co_u32_e32 v11, vcc, v2, v7
	v_addc_co_u32_e32 v12, vcc, v1, v8, vcc
	ds_read_b128 v[7:10], v0 offset:5760
	s_waitcnt lgkmcnt(1)
	global_store_dwordx4 v[11:12], v[3:6], off
	s_nop 0
	v_add_u32_e32 v3, 0x168, v82
	v_mov_b32_e32 v4, v83
	v_lshlrev_b64 v[3:4], 4, v[3:4]
	v_add_co_u32_e32 v3, vcc, v2, v3
	v_addc_co_u32_e32 v4, vcc, v1, v4, vcc
	s_waitcnt lgkmcnt(0)
	global_store_dwordx4 v[3:4], v[7:10], off
	ds_read_b128 v[3:6], v0 offset:7680
	v_add_u32_e32 v7, 0x1e0, v82
	v_mov_b32_e32 v8, v83
	v_lshlrev_b64 v[7:8], 4, v[7:8]
	;; [unrolled: 17-line block ×7, first 2 shown]
	v_add_co_u32_e32 v11, vcc, v2, v7
	v_addc_co_u32_e32 v12, vcc, v1, v8, vcc
	ds_read_b128 v[7:10], v0 offset:28800
	s_waitcnt lgkmcnt(1)
	global_store_dwordx4 v[11:12], v[3:6], off
	s_nop 0
	v_add_u32_e32 v3, 0x708, v82
	v_mov_b32_e32 v4, v83
	v_lshlrev_b64 v[3:4], 4, v[3:4]
	v_add_co_u32_e32 v3, vcc, v2, v3
	v_addc_co_u32_e32 v4, vcc, v1, v4, vcc
	v_cmp_eq_u32_e32 vcc, s0, v82
	s_waitcnt lgkmcnt(0)
	global_store_dwordx4 v[3:4], v[7:10], off
	s_and_b64 exec, exec, vcc
	s_cbranch_execz .LBB0_26
; %bb.25:
	ds_read_b128 v[3:6], v0 offset:28816
	v_add_co_u32_e32 v0, vcc, 0x7000, v2
	v_addc_co_u32_e32 v1, vcc, 0, v1, vcc
	s_waitcnt lgkmcnt(0)
	global_store_dwordx4 v[0:1], v[3:6], off offset:2048
.LBB0_26:
	s_endpgm
	.section	.rodata,"a",@progbits
	.p2align	6, 0x0
	.amdhsa_kernel fft_rtc_fwd_len1920_factors_10_6_16_2_wgs_240_tpt_120_halfLds_dp_op_CI_CI_unitstride_sbrr_R2C_dirReg
		.amdhsa_group_segment_fixed_size 0
		.amdhsa_private_segment_fixed_size 0
		.amdhsa_kernarg_size 104
		.amdhsa_user_sgpr_count 6
		.amdhsa_user_sgpr_private_segment_buffer 1
		.amdhsa_user_sgpr_dispatch_ptr 0
		.amdhsa_user_sgpr_queue_ptr 0
		.amdhsa_user_sgpr_kernarg_segment_ptr 1
		.amdhsa_user_sgpr_dispatch_id 0
		.amdhsa_user_sgpr_flat_scratch_init 0
		.amdhsa_user_sgpr_private_segment_size 0
		.amdhsa_uses_dynamic_stack 0
		.amdhsa_system_sgpr_private_segment_wavefront_offset 0
		.amdhsa_system_sgpr_workgroup_id_x 1
		.amdhsa_system_sgpr_workgroup_id_y 0
		.amdhsa_system_sgpr_workgroup_id_z 0
		.amdhsa_system_sgpr_workgroup_info 0
		.amdhsa_system_vgpr_workitem_id 0
		.amdhsa_next_free_vgpr 123
		.amdhsa_next_free_sgpr 28
		.amdhsa_reserve_vcc 1
		.amdhsa_reserve_flat_scratch 0
		.amdhsa_float_round_mode_32 0
		.amdhsa_float_round_mode_16_64 0
		.amdhsa_float_denorm_mode_32 3
		.amdhsa_float_denorm_mode_16_64 3
		.amdhsa_dx10_clamp 1
		.amdhsa_ieee_mode 1
		.amdhsa_fp16_overflow 0
		.amdhsa_exception_fp_ieee_invalid_op 0
		.amdhsa_exception_fp_denorm_src 0
		.amdhsa_exception_fp_ieee_div_zero 0
		.amdhsa_exception_fp_ieee_overflow 0
		.amdhsa_exception_fp_ieee_underflow 0
		.amdhsa_exception_fp_ieee_inexact 0
		.amdhsa_exception_int_div_zero 0
	.end_amdhsa_kernel
	.text
.Lfunc_end0:
	.size	fft_rtc_fwd_len1920_factors_10_6_16_2_wgs_240_tpt_120_halfLds_dp_op_CI_CI_unitstride_sbrr_R2C_dirReg, .Lfunc_end0-fft_rtc_fwd_len1920_factors_10_6_16_2_wgs_240_tpt_120_halfLds_dp_op_CI_CI_unitstride_sbrr_R2C_dirReg
                                        ; -- End function
	.section	.AMDGPU.csdata,"",@progbits
; Kernel info:
; codeLenInByte = 12852
; NumSgprs: 32
; NumVgprs: 123
; ScratchSize: 0
; MemoryBound: 0
; FloatMode: 240
; IeeeMode: 1
; LDSByteSize: 0 bytes/workgroup (compile time only)
; SGPRBlocks: 3
; VGPRBlocks: 30
; NumSGPRsForWavesPerEU: 32
; NumVGPRsForWavesPerEU: 123
; Occupancy: 2
; WaveLimiterHint : 1
; COMPUTE_PGM_RSRC2:SCRATCH_EN: 0
; COMPUTE_PGM_RSRC2:USER_SGPR: 6
; COMPUTE_PGM_RSRC2:TRAP_HANDLER: 0
; COMPUTE_PGM_RSRC2:TGID_X_EN: 1
; COMPUTE_PGM_RSRC2:TGID_Y_EN: 0
; COMPUTE_PGM_RSRC2:TGID_Z_EN: 0
; COMPUTE_PGM_RSRC2:TIDIG_COMP_CNT: 0
	.type	__hip_cuid_6d289e1d495663,@object ; @__hip_cuid_6d289e1d495663
	.section	.bss,"aw",@nobits
	.globl	__hip_cuid_6d289e1d495663
__hip_cuid_6d289e1d495663:
	.byte	0                               ; 0x0
	.size	__hip_cuid_6d289e1d495663, 1

	.ident	"AMD clang version 19.0.0git (https://github.com/RadeonOpenCompute/llvm-project roc-6.4.0 25133 c7fe45cf4b819c5991fe208aaa96edf142730f1d)"
	.section	".note.GNU-stack","",@progbits
	.addrsig
	.addrsig_sym __hip_cuid_6d289e1d495663
	.amdgpu_metadata
---
amdhsa.kernels:
  - .args:
      - .actual_access:  read_only
        .address_space:  global
        .offset:         0
        .size:           8
        .value_kind:     global_buffer
      - .offset:         8
        .size:           8
        .value_kind:     by_value
      - .actual_access:  read_only
        .address_space:  global
        .offset:         16
        .size:           8
        .value_kind:     global_buffer
      - .actual_access:  read_only
        .address_space:  global
        .offset:         24
        .size:           8
        .value_kind:     global_buffer
      - .actual_access:  read_only
        .address_space:  global
        .offset:         32
        .size:           8
        .value_kind:     global_buffer
      - .offset:         40
        .size:           8
        .value_kind:     by_value
      - .actual_access:  read_only
        .address_space:  global
        .offset:         48
        .size:           8
        .value_kind:     global_buffer
      - .actual_access:  read_only
        .address_space:  global
        .offset:         56
        .size:           8
        .value_kind:     global_buffer
      - .offset:         64
        .size:           4
        .value_kind:     by_value
      - .actual_access:  read_only
        .address_space:  global
        .offset:         72
        .size:           8
        .value_kind:     global_buffer
      - .actual_access:  read_only
        .address_space:  global
        .offset:         80
        .size:           8
        .value_kind:     global_buffer
      - .actual_access:  read_only
        .address_space:  global
        .offset:         88
        .size:           8
        .value_kind:     global_buffer
      - .actual_access:  write_only
        .address_space:  global
        .offset:         96
        .size:           8
        .value_kind:     global_buffer
    .group_segment_fixed_size: 0
    .kernarg_segment_align: 8
    .kernarg_segment_size: 104
    .language:       OpenCL C
    .language_version:
      - 2
      - 0
    .max_flat_workgroup_size: 240
    .name:           fft_rtc_fwd_len1920_factors_10_6_16_2_wgs_240_tpt_120_halfLds_dp_op_CI_CI_unitstride_sbrr_R2C_dirReg
    .private_segment_fixed_size: 0
    .sgpr_count:     32
    .sgpr_spill_count: 0
    .symbol:         fft_rtc_fwd_len1920_factors_10_6_16_2_wgs_240_tpt_120_halfLds_dp_op_CI_CI_unitstride_sbrr_R2C_dirReg.kd
    .uniform_work_group_size: 1
    .uses_dynamic_stack: false
    .vgpr_count:     123
    .vgpr_spill_count: 0
    .wavefront_size: 64
amdhsa.target:   amdgcn-amd-amdhsa--gfx906
amdhsa.version:
  - 1
  - 2
...

	.end_amdgpu_metadata
